;; amdgpu-corpus repo=ROCm/rocFFT kind=compiled arch=gfx1030 opt=O3
	.text
	.amdgcn_target "amdgcn-amd-amdhsa--gfx1030"
	.amdhsa_code_object_version 6
	.protected	bluestein_single_back_len3125_dim1_half_op_CI_CI ; -- Begin function bluestein_single_back_len3125_dim1_half_op_CI_CI
	.globl	bluestein_single_back_len3125_dim1_half_op_CI_CI
	.p2align	8
	.type	bluestein_single_back_len3125_dim1_half_op_CI_CI,@function
bluestein_single_back_len3125_dim1_half_op_CI_CI: ; @bluestein_single_back_len3125_dim1_half_op_CI_CI
; %bb.0:
	s_load_dwordx4 s[16:19], s[4:5], 0x28
	v_mul_u32_u24_e32 v1, 0x20d, v0
	v_mov_b32_e32 v77, 0
	s_mov_b32 s0, exec_lo
	v_lshrrev_b32_e32 v1, 16, v1
	v_add_nc_u32_e32 v76, s6, v1
	s_waitcnt lgkmcnt(0)
	v_cmpx_gt_u64_e64 s[16:17], v[76:77]
	s_cbranch_execz .LBB0_2
; %bb.1:
	s_load_dwordx4 s[8:11], s[4:5], 0x18
	v_mul_lo_u16 v1, 0x7d, v1
	s_load_dwordx4 s[0:3], s[4:5], 0x0
	s_waitcnt lgkmcnt(0)
	s_load_dwordx4 s[12:15], s[8:9], 0x0
	v_sub_nc_u16 v30, v0, v1
	v_and_b32_e32 v110, 0xffff, v30
	v_lshlrev_b32_e32 v81, 2, v110
	v_add_nc_u32_e32 v112, 0xa00, v81
	v_add_nc_u32_e32 v121, 0x1400, v81
	;; [unrolled: 1-line block ×3, first 2 shown]
	v_add_co_u32 v123, s6, s0, v81
	s_waitcnt lgkmcnt(0)
	v_mad_u64_u32 v[0:1], null, s14, v76, 0
	v_mad_u64_u32 v[2:3], null, s12, v110, 0
	v_add_co_ci_u32_e64 v124, null, s1, 0, s6
	v_add_co_u32 v17, vcc_lo, 0x800, v123
	s_mul_i32 s7, s13, 0x9c4
	v_add_co_ci_u32_e32 v18, vcc_lo, 0, v124, vcc_lo
	v_mad_u64_u32 v[4:5], null, s15, v76, v[1:2]
	v_add_co_u32 v19, vcc_lo, 0x1000, v123
	v_add_co_ci_u32_e32 v20, vcc_lo, 0, v124, vcc_lo
	v_add_co_u32 v23, vcc_lo, 0x1800, v123
	v_mad_u64_u32 v[5:6], null, s13, v110, v[3:4]
	v_mov_b32_e32 v1, v4
	v_add_co_ci_u32_e32 v24, vcc_lo, 0, v124, vcc_lo
	v_add_co_u32 v25, vcc_lo, 0x2000, v123
	v_lshlrev_b64 v[0:1], 2, v[0:1]
	v_mov_b32_e32 v3, v5
	v_add_co_ci_u32_e32 v26, vcc_lo, 0, v124, vcc_lo
	s_mul_hi_u32 s8, s12, 0x9c4
	s_mul_i32 s6, s12, 0x9c4
	v_lshlrev_b64 v[2:3], 2, v[2:3]
	v_add_co_u32 v0, vcc_lo, s18, v0
	v_add_co_ci_u32_e32 v1, vcc_lo, s19, v1, vcc_lo
	s_add_i32 s7, s8, s7
	v_add_co_u32 v0, vcc_lo, v0, v2
	v_add_co_ci_u32_e32 v1, vcc_lo, v1, v3, vcc_lo
	global_load_dword v114, v81, s[0:1]
	v_add_co_u32 v3, vcc_lo, v0, s6
	v_add_co_ci_u32_e32 v4, vcc_lo, s7, v1, vcc_lo
	s_clause 0x2
	global_load_dword v113, v[17:18], off offset:452
	global_load_dword v111, v[19:20], off offset:904
	;; [unrolled: 1-line block ×3, first 2 shown]
	global_load_dword v2, v[0:1], off
	s_mul_i32 s9, s13, 0xffffdae4
	global_load_dword v0, v[3:4], off
	v_add_co_u32 v3, vcc_lo, v3, s6
	v_add_co_ci_u32_e32 v4, vcc_lo, s7, v4, vcc_lo
	s_mul_hi_u32 s13, s12, 0xffffdae4
	v_add_co_u32 v5, vcc_lo, v3, s6
	v_add_co_ci_u32_e32 v6, vcc_lo, s7, v4, vcc_lo
	s_mul_i32 s8, s12, 0xffffdae4
	v_add_co_u32 v7, vcc_lo, v5, s6
	v_add_co_ci_u32_e32 v8, vcc_lo, s7, v6, vcc_lo
	s_sub_i32 s12, s13, s12
	s_clause 0x1
	global_load_dword v3, v[3:4], off
	global_load_dword v1, v[5:6], off
	s_add_i32 s9, s12, s9
	v_add_co_u32 v9, vcc_lo, v7, s8
	v_add_co_ci_u32_e32 v10, vcc_lo, s9, v8, vcc_lo
	s_clause 0x1
	global_load_dword v106, v81, s[0:1] offset:500
	global_load_dword v107, v[25:26], off offset:1808
	global_load_dword v4, v[7:8], off
	global_load_dword v5, v[9:10], off
	v_add_co_u32 v6, vcc_lo, v9, s6
	v_add_co_ci_u32_e32 v7, vcc_lo, s7, v10, vcc_lo
	v_add_co_u32 v27, vcc_lo, 0x2800, v123
	v_add_co_ci_u32_e32 v28, vcc_lo, 0, v124, vcc_lo
	;; [unrolled: 2-line block ×3, first 2 shown]
	global_load_dword v6, v[6:7], off
	s_clause 0x2
	global_load_dword v105, v[17:18], off offset:952
	global_load_dword v103, v[19:20], off offset:1404
	;; [unrolled: 1-line block ×3, first 2 shown]
	global_load_dword v7, v[8:9], off
	v_add_co_u32 v8, vcc_lo, v8, s6
	v_add_co_ci_u32_e32 v9, vcc_lo, s7, v9, vcc_lo
	global_load_dword v100, v[27:28], off offset:260
	v_add_co_u32 v10, vcc_lo, v8, s6
	v_add_co_ci_u32_e32 v11, vcc_lo, s7, v9, vcc_lo
	global_load_dword v9, v[8:9], off
	v_add_co_u32 v12, vcc_lo, v10, s8
	v_add_co_ci_u32_e32 v13, vcc_lo, s9, v11, vcc_lo
	global_load_dword v8, v[10:11], off
	v_add_co_u32 v14, vcc_lo, v12, s6
	v_add_co_ci_u32_e32 v15, vcc_lo, s7, v13, vcc_lo
	global_load_dword v98, v81, s[0:1] offset:1000
	global_load_dword v10, v[12:13], off
	global_load_dword v97, v[17:18], off offset:1452
	global_load_dword v11, v[14:15], off
	v_add_co_u32 v12, vcc_lo, v14, s6
	v_add_co_ci_u32_e32 v13, vcc_lo, s7, v15, vcc_lo
	global_load_dword v96, v[19:20], off offset:1904
	v_add_co_u32 v14, vcc_lo, v12, s6
	v_add_co_ci_u32_e32 v15, vcc_lo, s7, v13, vcc_lo
	global_load_dword v12, v[12:13], off
	v_add_co_u32 v21, vcc_lo, v14, s6
	v_add_co_ci_u32_e32 v22, vcc_lo, s7, v15, vcc_lo
	global_load_dword v13, v[14:15], off
	global_load_dword v94, v[25:26], off offset:308
	global_load_dword v14, v[21:22], off
	v_add_co_u32 v15, vcc_lo, v21, s8
	v_add_co_ci_u32_e32 v16, vcc_lo, s9, v22, vcc_lo
	global_load_dword v93, v[27:28], off offset:760
	v_add_co_u32 v21, vcc_lo, v15, s6
	v_add_co_ci_u32_e32 v22, vcc_lo, s7, v16, vcc_lo
	global_load_dword v15, v[15:16], off
	s_clause 0x1
	global_load_dword v91, v81, s[0:1] offset:1500
	global_load_dword v86, v81, s[0:1] offset:2000
	global_load_dword v16, v[21:22], off
	v_add_co_u32 v21, vcc_lo, v21, s6
	v_add_co_ci_u32_e32 v22, vcc_lo, s7, v22, vcc_lo
	global_load_dword v90, v[17:18], off offset:1952
	v_add_co_u32 v31, vcc_lo, v21, s6
	v_add_co_ci_u32_e32 v32, vcc_lo, s7, v22, vcc_lo
	global_load_dword v89, v[23:24], off offset:356
	global_load_dword v18, v[21:22], off
	s_clause 0x1
	global_load_dword v88, v[25:26], off offset:808
	global_load_dword v87, v[27:28], off offset:1260
	global_load_dword v17, v[31:32], off
	v_add_co_u32 v21, vcc_lo, v31, s6
	v_add_co_ci_u32_e32 v22, vcc_lo, s7, v32, vcc_lo
	global_load_dword v85, v[19:20], off offset:404
	v_add_co_u32 v31, vcc_lo, v21, s8
	v_add_co_ci_u32_e32 v32, vcc_lo, s9, v22, vcc_lo
	global_load_dword v20, v[21:22], off
	v_add_co_u32 v21, vcc_lo, v31, s6
	v_add_co_ci_u32_e32 v22, vcc_lo, s7, v32, vcc_lo
	global_load_dword v19, v[31:32], off
	;; [unrolled: 3-line block ×4, first 2 shown]
	v_add_co_u32 v31, vcc_lo, v33, s6
	v_add_co_ci_u32_e32 v32, vcc_lo, s7, v34, vcc_lo
	global_load_dword v84, v[23:24], off offset:856
	global_load_dword v23, v[33:34], off
	global_load_dword v24, v[31:32], off
	s_clause 0x1
	global_load_dword v83, v[25:26], off offset:1308
	global_load_dword v82, v[27:28], off offset:1760
	v_add_nc_u32_e32 v122, 0x2800, v81
	v_add_nc_u32_e32 v104, 0x200, v81
	;; [unrolled: 1-line block ×10, first 2 shown]
	s_load_dwordx4 s[8:11], s[10:11], 0x0
	v_add_nc_u32_e32 v102, 0x1600, v81
	v_add_nc_u32_e32 v99, 0x2a00, v81
	v_mov_b32_e32 v31, 2
	v_mul_lo_u16 v25, v30, 5
	s_mov_b32 s6, 0x7aeb597c
	s_mov_b32 s7, 0x3f34fa6d
	v_lshlrev_b32_sdwa v125, v31, v25 dst_sel:DWORD dst_unused:UNUSED_PAD src0_sel:DWORD src1_sel:WORD_0
	s_waitcnt vmcnt(45)
	v_lshrrev_b32_e32 v26, 16, v2
	v_mul_f16_sdwa v27, v114, v2 dst_sel:DWORD dst_unused:UNUSED_PAD src0_sel:WORD_1 src1_sel:DWORD
	s_waitcnt vmcnt(44)
	v_lshrrev_b32_e32 v29, 16, v0
	v_mul_f16_sdwa v32, v113, v0 dst_sel:DWORD dst_unused:UNUSED_PAD src0_sel:WORD_1 src1_sel:DWORD
	v_mul_f16_sdwa v28, v114, v26 dst_sel:DWORD dst_unused:UNUSED_PAD src0_sel:WORD_1 src1_sel:DWORD
	v_fma_f16 v26, v114, v26, -v27
	v_fmac_f16_e32 v28, v114, v2
	v_mul_f16_sdwa v2, v113, v29 dst_sel:DWORD dst_unused:UNUSED_PAD src0_sel:WORD_1 src1_sel:DWORD
	v_fma_f16 v29, v113, v29, -v32
	v_pack_b32_f16 v26, v28, v26
	v_fmac_f16_e32 v2, v113, v0
	s_waitcnt vmcnt(43)
	v_lshrrev_b32_e32 v27, 16, v3
	v_mul_f16_sdwa v32, v111, v3 dst_sel:DWORD dst_unused:UNUSED_PAD src0_sel:WORD_1 src1_sel:DWORD
	s_waitcnt vmcnt(42)
	v_lshrrev_b32_e32 v28, 16, v1
	v_mul_f16_sdwa v33, v109, v1 dst_sel:DWORD dst_unused:UNUSED_PAD src0_sel:WORD_1 src1_sel:DWORD
	v_pack_b32_f16 v2, v2, v29
	v_mul_f16_sdwa v0, v111, v27 dst_sel:DWORD dst_unused:UNUSED_PAD src0_sel:WORD_1 src1_sel:DWORD
	v_fma_f16 v27, v111, v27, -v32
	s_waitcnt vmcnt(39)
	v_lshrrev_b32_e32 v29, 16, v4
	v_mul_f16_sdwa v32, v107, v4 dst_sel:DWORD dst_unused:UNUSED_PAD src0_sel:WORD_1 src1_sel:DWORD
	ds_write_b32 v81, v2 offset:2500
	v_fmac_f16_e32 v0, v111, v3
	v_mul_f16_sdwa v3, v109, v28 dst_sel:DWORD dst_unused:UNUSED_PAD src0_sel:WORD_1 src1_sel:DWORD
	v_fma_f16 v28, v109, v28, -v33
	v_fma_f16 v2, v107, v29, -v32
	v_pack_b32_f16 v0, v0, v27
	v_fmac_f16_e32 v3, v109, v1
	v_mul_f16_sdwa v1, v107, v29 dst_sel:DWORD dst_unused:UNUSED_PAD src0_sel:WORD_1 src1_sel:DWORD
	s_waitcnt vmcnt(38)
	v_lshrrev_b32_e32 v27, 16, v5
	v_mul_f16_sdwa v29, v106, v5 dst_sel:DWORD dst_unused:UNUSED_PAD src0_sel:WORD_1 src1_sel:DWORD
	ds_write_b32 v81, v0 offset:5000
	v_pack_b32_f16 v0, v3, v28
	v_fmac_f16_e32 v1, v107, v4
	v_mul_f16_sdwa v3, v106, v27 dst_sel:DWORD dst_unused:UNUSED_PAD src0_sel:WORD_1 src1_sel:DWORD
	v_fma_f16 v4, v106, v27, -v29
	s_waitcnt vmcnt(37)
	v_lshrrev_b32_e32 v27, 16, v6
	s_waitcnt vmcnt(36)
	v_mul_f16_sdwa v28, v105, v6 dst_sel:DWORD dst_unused:UNUSED_PAD src0_sel:WORD_1 src1_sel:DWORD
	ds_write_b32 v81, v0 offset:7500
	v_pack_b32_f16 v0, v1, v2
	v_fmac_f16_e32 v3, v106, v5
	v_mul_f16_sdwa v1, v105, v27 dst_sel:DWORD dst_unused:UNUSED_PAD src0_sel:WORD_1 src1_sel:DWORD
	v_fma_f16 v2, v105, v27, -v28
	s_waitcnt vmcnt(33)
	v_lshrrev_b32_e32 v5, 16, v7
	v_mul_f16_sdwa v27, v103, v7 dst_sel:DWORD dst_unused:UNUSED_PAD src0_sel:WORD_1 src1_sel:DWORD
	ds_write_b32 v81, v0 offset:10000
	v_pack_b32_f16 v0, v3, v4
	v_fmac_f16_e32 v1, v105, v6
	v_mul_f16_sdwa v3, v103, v5 dst_sel:DWORD dst_unused:UNUSED_PAD src0_sel:WORD_1 src1_sel:DWORD
	v_fma_f16 v4, v103, v5, -v27
	s_waitcnt vmcnt(31)
	v_lshrrev_b32_e32 v5, 16, v9
	v_mul_f16_sdwa v6, v101, v9 dst_sel:DWORD dst_unused:UNUSED_PAD src0_sel:WORD_1 src1_sel:DWORD
	ds_write2_b32 v81, v26, v0 offset1:125
	v_pack_b32_f16 v0, v1, v2
	v_fmac_f16_e32 v3, v103, v7
	v_mul_f16_sdwa v1, v101, v5 dst_sel:DWORD dst_unused:UNUSED_PAD src0_sel:WORD_1 src1_sel:DWORD
	s_waitcnt vmcnt(30)
	v_lshrrev_b32_e32 v2, 16, v8
	v_fma_f16 v5, v101, v5, -v6
	v_mul_f16_sdwa v6, v100, v8 dst_sel:DWORD dst_unused:UNUSED_PAD src0_sel:WORD_1 src1_sel:DWORD
	v_pack_b32_f16 v3, v3, v4
	v_fmac_f16_e32 v1, v101, v9
	v_mul_f16_sdwa v4, v100, v2 dst_sel:DWORD dst_unused:UNUSED_PAD src0_sel:WORD_1 src1_sel:DWORD
	s_waitcnt vmcnt(28)
	v_lshrrev_b32_e32 v7, 16, v10
	v_fma_f16 v2, v100, v2, -v6
	v_mul_f16_sdwa v6, v98, v10 dst_sel:DWORD dst_unused:UNUSED_PAD src0_sel:WORD_1 src1_sel:DWORD
	;; [unrolled: 7-line block ×4, first 2 shown]
	v_pack_b32_f16 v5, v5, v6
	v_fmac_f16_e32 v4, v97, v11
	v_mul_f16_sdwa v6, v96, v9 dst_sel:DWORD dst_unused:UNUSED_PAD src0_sel:WORD_1 src1_sel:DWORD
	s_waitcnt vmcnt(23)
	v_lshrrev_b32_e32 v10, 16, v13
	s_waitcnt vmcnt(22)
	v_mul_f16_sdwa v11, v94, v13 dst_sel:DWORD dst_unused:UNUSED_PAD src0_sel:WORD_1 src1_sel:DWORD
	v_fma_f16 v8, v96, v9, -v8
	v_pack_b32_f16 v4, v4, v7
	v_fmac_f16_e32 v6, v96, v12
	v_mul_f16_sdwa v7, v94, v10 dst_sel:DWORD dst_unused:UNUSED_PAD src0_sel:WORD_1 src1_sel:DWORD
	v_fma_f16 v9, v94, v10, -v11
	s_waitcnt vmcnt(21)
	v_lshrrev_b32_e32 v10, 16, v14
	s_waitcnt vmcnt(20)
	v_mul_f16_sdwa v11, v93, v14 dst_sel:DWORD dst_unused:UNUSED_PAD src0_sel:WORD_1 src1_sel:DWORD
	ds_write2_b32 v112, v0, v4 offset0:110 offset1:235
	v_pack_b32_f16 v0, v6, v8
	v_fmac_f16_e32 v7, v94, v13
	v_mul_f16_sdwa v4, v93, v10 dst_sel:DWORD dst_unused:UNUSED_PAD src0_sel:WORD_1 src1_sel:DWORD
	v_fma_f16 v6, v93, v10, -v11
	s_waitcnt vmcnt(19)
	v_lshrrev_b32_e32 v8, 16, v15
	s_waitcnt vmcnt(18)
	v_mul_f16_sdwa v10, v91, v15 dst_sel:DWORD dst_unused:UNUSED_PAD src0_sel:WORD_1 src1_sel:DWORD
	ds_write2_b32 v121, v3, v0 offset0:95 offset1:220
	;; [unrolled: 9-line block ×3, first 2 shown]
	v_pack_b32_f16 v0, v4, v6
	v_fmac_f16_e32 v3, v91, v15
	v_mul_f16_sdwa v1, v90, v8 dst_sel:DWORD dst_unused:UNUSED_PAD src0_sel:WORD_1 src1_sel:DWORD
	v_fma_f16 v4, v90, v8, -v9
	s_waitcnt vmcnt(13)
	v_lshrrev_b32_e32 v6, 16, v18
	v_mul_f16_sdwa v8, v89, v18 dst_sel:DWORD dst_unused:UNUSED_PAD src0_sel:WORD_1 src1_sel:DWORD
	ds_write2_b32 v122, v2, v0 offset0:65 offset1:190
	v_pack_b32_f16 v0, v3, v7
	v_fmac_f16_e32 v1, v90, v16
	v_mul_f16_sdwa v2, v89, v6 dst_sel:DWORD dst_unused:UNUSED_PAD src0_sel:WORD_1 src1_sel:DWORD
	v_fma_f16 v3, v89, v6, -v8
	s_waitcnt vmcnt(10)
	v_lshrrev_b32_e32 v6, 16, v17
	v_mul_f16_sdwa v7, v88, v17 dst_sel:DWORD dst_unused:UNUSED_PAD src0_sel:WORD_1 src1_sel:DWORD
	ds_write2_b32 v104, v5, v0 offset0:122 offset1:247
	v_pack_b32_f16 v0, v1, v4
	v_fmac_f16_e32 v2, v89, v18
	v_mul_f16_sdwa v1, v88, v6 dst_sel:DWORD dst_unused:UNUSED_PAD src0_sel:WORD_1 src1_sel:DWORD
	s_waitcnt vmcnt(8)
	v_lshrrev_b32_e32 v4, 16, v20
	v_mul_f16_sdwa v5, v87, v20 dst_sel:DWORD dst_unused:UNUSED_PAD src0_sel:WORD_1 src1_sel:DWORD
	v_fma_f16 v6, v88, v6, -v7
	v_pack_b32_f16 v2, v2, v3
	v_fmac_f16_e32 v1, v88, v17
	v_mul_f16_sdwa v3, v87, v4 dst_sel:DWORD dst_unused:UNUSED_PAD src0_sel:WORD_1 src1_sel:DWORD
	v_fma_f16 v4, v87, v4, -v5
	s_waitcnt vmcnt(7)
	v_lshrrev_b32_e32 v5, 16, v19
	v_mul_f16_sdwa v7, v86, v19 dst_sel:DWORD dst_unused:UNUSED_PAD src0_sel:WORD_1 src1_sel:DWORD
	v_pack_b32_f16 v1, v1, v6
	v_fmac_f16_e32 v3, v87, v20
	s_waitcnt vmcnt(6)
	v_lshrrev_b32_e32 v6, 16, v21
	v_mul_f16_sdwa v8, v86, v5 dst_sel:DWORD dst_unused:UNUSED_PAD src0_sel:WORD_1 src1_sel:DWORD
	v_fma_f16 v5, v86, v5, -v7
	v_mul_f16_sdwa v7, v85, v21 dst_sel:DWORD dst_unused:UNUSED_PAD src0_sel:WORD_1 src1_sel:DWORD
	s_waitcnt vmcnt(5)
	v_lshrrev_b32_e32 v9, 16, v22
	v_pack_b32_f16 v3, v3, v4
	v_mul_f16_sdwa v4, v85, v6 dst_sel:DWORD dst_unused:UNUSED_PAD src0_sel:WORD_1 src1_sel:DWORD
	s_waitcnt vmcnt(3)
	v_lshrrev_b32_e32 v10, 16, v23
	v_fma_f16 v6, v85, v6, -v7
	v_mul_f16_sdwa v7, v84, v22 dst_sel:DWORD dst_unused:UNUSED_PAD src0_sel:WORD_1 src1_sel:DWORD
	s_waitcnt vmcnt(2)
	v_lshrrev_b32_e32 v12, 16, v24
	v_mul_f16_sdwa v11, v84, v9 dst_sel:DWORD dst_unused:UNUSED_PAD src0_sel:WORD_1 src1_sel:DWORD
	s_waitcnt vmcnt(1)
	v_mul_f16_sdwa v13, v83, v10 dst_sel:DWORD dst_unused:UNUSED_PAD src0_sel:WORD_1 src1_sel:DWORD
	s_waitcnt vmcnt(0)
	v_mul_f16_sdwa v14, v82, v24 dst_sel:DWORD dst_unused:UNUSED_PAD src0_sel:WORD_1 src1_sel:DWORD
	v_fma_f16 v7, v84, v9, -v7
	v_mul_f16_sdwa v9, v83, v23 dst_sel:DWORD dst_unused:UNUSED_PAD src0_sel:WORD_1 src1_sel:DWORD
	v_mul_f16_sdwa v15, v82, v12 dst_sel:DWORD dst_unused:UNUSED_PAD src0_sel:WORD_1 src1_sel:DWORD
	v_fmac_f16_e32 v8, v86, v19
	v_fmac_f16_e32 v4, v85, v21
	;; [unrolled: 1-line block ×3, first 2 shown]
	v_fma_f16 v9, v83, v10, -v9
	v_fmac_f16_e32 v13, v83, v23
	v_fma_f16 v10, v82, v12, -v14
	v_fmac_f16_e32 v15, v82, v24
	v_pack_b32_f16 v5, v8, v5
	v_pack_b32_f16 v4, v4, v6
	;; [unrolled: 1-line block ×5, first 2 shown]
	ds_write_b32 v81, v5 offset:2000
	ds_write2_b32 v95, v0, v4 offset0:104 offset1:229
	ds_write2_b32 v119, v2, v6 offset0:89 offset1:214
	ds_write2_b32 v92, v1, v7 offset0:74 offset1:199
	ds_write2_b32 v120, v3, v8 offset0:59 offset1:184
	s_waitcnt lgkmcnt(0)
	s_barrier
	buffer_gl0_inv
	ds_read2_b32 v[4:5], v81 offset1:125
	ds_read2_b32 v[0:1], v118 offset0:116 offset1:241
	ds_read2_b32 v[6:7], v117 offset0:98 offset1:223
	;; [unrolled: 1-line block ×11, first 2 shown]
	ds_read_b32 v24, v81 offset:12000
	s_waitcnt lgkmcnt(0)
	s_barrier
	buffer_gl0_inv
	v_lshrrev_b32_e32 v25, 16, v4
	v_lshrrev_b32_e32 v26, 16, v5
	v_add_f16_e32 v27, v4, v1
	v_add_f16_e32 v28, v6, v9
	;; [unrolled: 1-line block ×3, first 2 shown]
	v_add_f16_sdwa v38, v6, v9 dst_sel:DWORD dst_unused:UNUSED_PAD src0_sel:WORD_1 src1_sel:WORD_1
	v_add_f16_sdwa v43, v1, v10 dst_sel:DWORD dst_unused:UNUSED_PAD src0_sel:WORD_1 src1_sel:WORD_1
	v_sub_f16_sdwa v29, v1, v10 dst_sel:DWORD dst_unused:UNUSED_PAD src0_sel:WORD_1 src1_sel:WORD_1
	v_sub_f16_e32 v33, v1, v6
	v_sub_f16_e32 v36, v6, v1
	;; [unrolled: 1-line block ×3, first 2 shown]
	v_sub_f16_sdwa v41, v1, v6 dst_sel:DWORD dst_unused:UNUSED_PAD src0_sel:WORD_1 src1_sel:WORD_1
	v_sub_f16_sdwa v44, v6, v1 dst_sel:DWORD dst_unused:UNUSED_PAD src0_sel:WORD_1 src1_sel:WORD_1
	v_add_f16_e32 v46, v5, v12
	v_add_f16_sdwa v51, v7, v14 dst_sel:DWORD dst_unused:UNUSED_PAD src0_sel:WORD_1 src1_sel:WORD_1
	v_add_f16_sdwa v61, v12, v11 dst_sel:DWORD dst_unused:UNUSED_PAD src0_sel:WORD_1 src1_sel:WORD_1
	v_fma_f16 v28, -0.5, v28, v4
	v_fma_f16 v4, -0.5, v35, v4
	v_add_f16_sdwa v1, v25, v1 dst_sel:DWORD dst_unused:UNUSED_PAD src0_sel:DWORD src1_sel:WORD_1
	v_fma_f16 v35, -0.5, v38, v25
	v_sub_f16_sdwa v32, v6, v9 dst_sel:DWORD dst_unused:UNUSED_PAD src0_sel:WORD_1 src1_sel:WORD_1
	v_sub_f16_e32 v34, v10, v9
	v_sub_f16_e32 v37, v9, v10
	;; [unrolled: 1-line block ×3, first 2 shown]
	v_sub_f16_sdwa v45, v9, v10 dst_sel:DWORD dst_unused:UNUSED_PAD src0_sel:WORD_1 src1_sel:WORD_1
	v_add_f16_e32 v47, v7, v14
	v_sub_f16_sdwa v53, v12, v7 dst_sel:DWORD dst_unused:UNUSED_PAD src0_sel:WORD_1 src1_sel:WORD_1
	v_sub_f16_sdwa v54, v7, v12 dst_sel:DWORD dst_unused:UNUSED_PAD src0_sel:WORD_1 src1_sel:WORD_1
	v_sub_f16_sdwa v60, v11, v14 dst_sel:DWORD dst_unused:UNUSED_PAD src0_sel:WORD_1 src1_sel:WORD_1
	v_sub_f16_sdwa v62, v14, v11 dst_sel:DWORD dst_unused:UNUSED_PAD src0_sel:WORD_1 src1_sel:WORD_1
	v_fmac_f16_e32 v25, -0.5, v43
	v_sub_f16_sdwa v42, v10, v9 dst_sel:DWORD dst_unused:UNUSED_PAD src0_sel:WORD_1 src1_sel:WORD_1
	v_sub_f16_e32 v49, v12, v7
	v_sub_f16_e32 v50, v7, v12
	v_sub_f16_sdwa v55, v12, v11 dst_sel:DWORD dst_unused:UNUSED_PAD src0_sel:WORD_1 src1_sel:WORD_1
	v_add_f16_e32 v57, v12, v11
	v_sub_f16_e32 v59, v12, v11
	v_add_f16_e32 v27, v27, v6
	v_add_f16_sdwa v12, v26, v12 dst_sel:DWORD dst_unused:UNUSED_PAD src0_sel:DWORD src1_sel:WORD_1
	v_add_f16_e32 v38, v46, v7
	v_fma_f16 v46, -0.5, v51, v26
	v_fmac_f16_e32 v26, -0.5, v61
	v_fmamk_f16 v61, v29, 0x3b9c, v28
	v_add_f16_sdwa v1, v1, v6 dst_sel:DWORD dst_unused:UNUSED_PAD src0_sel:DWORD src1_sel:WORD_1
	v_fmamk_f16 v6, v39, 0xbb9c, v35
	v_add_f16_e32 v33, v33, v34
	v_add_f16_e32 v34, v36, v37
	;; [unrolled: 1-line block ×3, first 2 shown]
	v_fma_f16 v43, -0.5, v47, v5
	v_add_f16_e32 v45, v53, v60
	v_add_f16_e32 v47, v54, v62
	v_fmamk_f16 v60, v32, 0xbb9c, v4
	v_fmac_f16_e32 v4, 0x3b9c, v32
	v_fmamk_f16 v62, v40, 0x3b9c, v25
	v_fmac_f16_e32 v25, 0xbb9c, v40
	v_add_f16_e32 v36, v41, v42
	v_add_f16_e32 v27, v27, v9
	v_fmac_f16_e32 v61, 0x38b4, v32
	v_fmac_f16_e32 v6, 0xb8b4, v40
	v_add_f16_sdwa v1, v1, v9 dst_sel:DWORD dst_unused:UNUSED_PAD src0_sel:DWORD src1_sel:WORD_1
	v_fmac_f16_e32 v60, 0x38b4, v29
	v_fmac_f16_e32 v4, 0xb8b4, v29
	;; [unrolled: 1-line block ×4, first 2 shown]
	v_add_f16_e32 v129, v17, v22
	v_add_f16_e32 v130, v20, v19
	v_add_f16_e32 v27, v27, v10
	v_fmac_f16_e32 v61, 0x34f2, v33
	v_fmac_f16_e32 v6, 0x34f2, v36
	v_add_f16_sdwa v1, v1, v10 dst_sel:DWORD dst_unused:UNUSED_PAD src0_sel:DWORD src1_sel:WORD_1
	v_fmac_f16_e32 v60, 0x34f2, v34
	v_fmac_f16_e32 v4, 0x34f2, v34
	;; [unrolled: 1-line block ×4, first 2 shown]
	v_lshrrev_b32_e32 v63, 16, v2
	v_lshrrev_b32_e32 v131, 16, v3
	v_add_f16_e32 v132, v3, v20
	v_sub_f16_sdwa v134, v17, v22 dst_sel:DWORD dst_unused:UNUSED_PAD src0_sel:WORD_1 src1_sel:WORD_1
	v_fmac_f16_e32 v5, -0.5, v57
	v_fma_f16 v57, -0.5, v129, v3
	v_fmac_f16_e32 v3, -0.5, v130
	v_pack_b32_f16 v6, v61, v6
	v_pack_b32_f16 v1, v27, v1
	v_pack_b32_f16 v4, v4, v25
	v_pack_b32_f16 v10, v60, v62
	v_sub_f16_sdwa v48, v7, v14 dst_sel:DWORD dst_unused:UNUSED_PAD src0_sel:WORD_1 src1_sel:WORD_1
	v_sub_f16_e32 v52, v7, v14
	v_add_f16_e32 v64, v2, v13
	v_sub_f16_sdwa v65, v13, v18 dst_sel:DWORD dst_unused:UNUSED_PAD src0_sel:WORD_1 src1_sel:WORD_1
	v_sub_f16_e32 v66, v13, v16
	v_add_f16_e32 v67, v13, v18
	v_sub_f16_e32 v68, v16, v13
	v_sub_f16_e32 v69, v13, v18
	v_sub_f16_sdwa v70, v13, v16 dst_sel:DWORD dst_unused:UNUSED_PAD src0_sel:WORD_1 src1_sel:WORD_1
	v_add_f16_sdwa v71, v13, v18 dst_sel:DWORD dst_unused:UNUSED_PAD src0_sel:WORD_1 src1_sel:WORD_1
	v_sub_f16_sdwa v72, v16, v13 dst_sel:DWORD dst_unused:UNUSED_PAD src0_sel:WORD_1 src1_sel:WORD_1
	v_sub_f16_sdwa v133, v20, v19 dst_sel:DWORD dst_unused:UNUSED_PAD src0_sel:WORD_1 src1_sel:WORD_1
	v_add_f16_sdwa v13, v63, v13 dst_sel:DWORD dst_unused:UNUSED_PAD src0_sel:DWORD src1_sel:WORD_1
	v_add_f16_sdwa v7, v12, v7 dst_sel:DWORD dst_unused:UNUSED_PAD src0_sel:DWORD src1_sel:WORD_1
	ds_write2_b32 v125, v1, v6 offset1:1
	ds_write2_b32 v125, v10, v4 offset0:2 offset1:3
	v_sub_f16_e32 v4, v17, v20
	v_sub_f16_e32 v6, v22, v19
	v_fmamk_f16 v10, v134, 0xbb9c, v3
	v_fmac_f16_e32 v3, 0x3b9c, v134
	v_add_f16_e32 v12, v38, v14
	v_add_f16_sdwa v13, v13, v16 dst_sel:DWORD dst_unused:UNUSED_PAD src0_sel:DWORD src1_sel:WORD_1
	v_add_f16_sdwa v7, v7, v14 dst_sel:DWORD dst_unused:UNUSED_PAD src0_sel:DWORD src1_sel:WORD_1
	v_add_f16_e32 v4, v4, v6
	v_fmac_f16_e32 v10, 0x38b4, v133
	v_fmac_f16_e32 v3, 0xb8b4, v133
	v_sub_f16_e32 v56, v11, v14
	v_sub_f16_e32 v58, v14, v11
	v_add_f16_e32 v41, v64, v16
	v_add_f16_e32 v9, v12, v11
	v_add_f16_sdwa v12, v13, v15 dst_sel:DWORD dst_unused:UNUSED_PAD src0_sel:DWORD src1_sel:WORD_1
	v_add_f16_sdwa v7, v7, v11 dst_sel:DWORD dst_unused:UNUSED_PAD src0_sel:DWORD src1_sel:WORD_1
	v_fmac_f16_e32 v10, 0x34f2, v4
	v_sub_f16_sdwa v6, v20, v17 dst_sel:DWORD dst_unused:UNUSED_PAD src0_sel:WORD_1 src1_sel:WORD_1
	v_sub_f16_sdwa v11, v19, v22 dst_sel:DWORD dst_unused:UNUSED_PAD src0_sel:WORD_1 src1_sel:WORD_1
	v_add_f16_sdwa v13, v17, v22 dst_sel:DWORD dst_unused:UNUSED_PAD src0_sel:WORD_1 src1_sel:WORD_1
	v_add_f16_sdwa v14, v20, v19 dst_sel:DWORD dst_unused:UNUSED_PAD src0_sel:WORD_1 src1_sel:WORD_1
	v_fmac_f16_e32 v3, 0x34f2, v4
	v_add_f16_sdwa v4, v131, v20 dst_sel:DWORD dst_unused:UNUSED_PAD src0_sel:DWORD src1_sel:WORD_1
	v_add_f16_e32 v73, v16, v15
	v_sub_f16_sdwa v74, v16, v15 dst_sel:DWORD dst_unused:UNUSED_PAD src0_sel:WORD_1 src1_sel:WORD_1
	v_sub_f16_e32 v75, v18, v15
	v_sub_f16_e32 v77, v15, v18
	v_add_f16_sdwa v78, v16, v15 dst_sel:DWORD dst_unused:UNUSED_PAD src0_sel:WORD_1 src1_sel:WORD_1
	v_sub_f16_e32 v79, v16, v15
	v_sub_f16_sdwa v80, v18, v15 dst_sel:DWORD dst_unused:UNUSED_PAD src0_sel:WORD_1 src1_sel:WORD_1
	v_sub_f16_sdwa v126, v15, v18 dst_sel:DWORD dst_unused:UNUSED_PAD src0_sel:WORD_1 src1_sel:WORD_1
	v_sub_f16_e32 v127, v20, v17
	v_add_f16_e32 v16, v41, v15
	v_add_f16_e32 v6, v6, v11
	v_fma_f16 v11, -0.5, v13, v131
	v_fmac_f16_e32 v131, -0.5, v14
	v_add_f16_e32 v13, v132, v17
	v_add_f16_sdwa v4, v4, v17 dst_sel:DWORD dst_unused:UNUSED_PAD src0_sel:DWORD src1_sel:WORD_1
	v_sub_f16_e32 v14, v17, v22
	v_sub_f16_sdwa v15, v17, v20 dst_sel:DWORD dst_unused:UNUSED_PAD src0_sel:WORD_1 src1_sel:WORD_1
	v_sub_f16_e32 v17, v20, v19
	v_fmac_f16_e32 v28, 0xbb9c, v29
	v_fmac_f16_e32 v35, 0x3b9c, v39
	v_fmamk_f16 v41, v55, 0x3b9c, v43
	v_fmamk_f16 v64, v59, 0xbb9c, v46
	v_add_f16_e32 v16, v16, v18
	v_add_f16_sdwa v12, v12, v18 dst_sel:DWORD dst_unused:UNUSED_PAD src0_sel:DWORD src1_sel:WORD_1
	v_fmamk_f16 v18, v17, 0xbb9c, v11
	v_fmac_f16_e32 v11, 0x3b9c, v17
	v_add_f16_e32 v42, v49, v56
	v_fmac_f16_e32 v28, 0xb8b4, v32
	v_fmac_f16_e32 v35, 0x38b4, v40
	;; [unrolled: 1-line block ×4, first 2 shown]
	v_add_f16_e32 v13, v13, v22
	v_add_f16_sdwa v4, v4, v22 dst_sel:DWORD dst_unused:UNUSED_PAD src0_sel:DWORD src1_sel:WORD_1
	v_fmac_f16_e32 v18, 0xb8b4, v14
	v_fmac_f16_e32 v11, 0x38b4, v14
	v_add_co_u32 v38, null, 0x7d, v110
	v_sub_f16_e32 v128, v19, v22
	v_fmac_f16_e32 v28, 0x34f2, v33
	v_fmac_f16_e32 v35, 0x34f2, v36
	v_fmac_f16_e32 v41, 0x34f2, v42
	v_fmac_f16_e32 v64, 0x34f2, v45
	v_add_f16_e32 v13, v13, v19
	v_add_f16_sdwa v4, v4, v19 dst_sel:DWORD dst_unused:UNUSED_PAD src0_sel:DWORD src1_sel:WORD_1
	v_sub_f16_sdwa v19, v22, v19 dst_sel:DWORD dst_unused:UNUSED_PAD src0_sel:WORD_1 src1_sel:WORD_1
	v_fmac_f16_e32 v18, 0x34f2, v6
	v_fmac_f16_e32 v11, 0x34f2, v6
	v_mul_u32_u24_e32 v6, 5, v38
	v_add_f16_e32 v56, v127, v128
	v_fmamk_f16 v20, v14, 0x3b9c, v131
	v_fmac_f16_e32 v131, 0xbb9c, v14
	v_add_f16_e32 v14, v15, v19
	v_pack_b32_f16 v15, v28, v35
	v_pack_b32_f16 v19, v41, v64
	;; [unrolled: 1-line block ×3, first 2 shown]
	v_lshlrev_b32_e32 v128, 2, v6
	v_add_f16_e32 v44, v50, v58
	v_add_f16_e32 v49, v66, v75
	v_fma_f16 v58, -0.5, v73, v2
	v_fma_f16 v2, -0.5, v67, v2
	v_fmamk_f16 v66, v48, 0xbb9c, v5
	v_fmac_f16_e32 v5, 0x3b9c, v48
	v_fmamk_f16 v67, v52, 0x3b9c, v26
	v_fmac_f16_e32 v26, 0xbb9c, v52
	ds_write_b32 v125, v15 offset:16
	ds_write2_b32 v128, v7, v19 offset1:1
	v_add_f16_e32 v7, v8, v23
	v_fmac_f16_e32 v5, 0xb8b4, v55
	v_fmac_f16_e32 v26, 0x38b4, v59
	v_sub_f16_e32 v6, v21, v8
	v_sub_f16_e32 v9, v24, v23
	v_add_f16_e32 v15, v21, v24
	v_fma_f16 v19, -0.5, v7, v0
	v_sub_f16_sdwa v7, v21, v24 dst_sel:DWORD dst_unused:UNUSED_PAD src0_sel:WORD_1 src1_sel:WORD_1
	v_fmac_f16_e32 v5, 0x34f2, v44
	v_fmac_f16_e32 v26, 0x34f2, v47
	;; [unrolled: 1-line block ×4, first 2 shown]
	v_lshrrev_b32_e32 v17, 16, v0
	v_add_f16_e32 v6, v6, v9
	v_add_f16_e32 v9, v0, v21
	v_fmac_f16_e32 v0, -0.5, v15
	v_sub_f16_sdwa v15, v8, v23 dst_sel:DWORD dst_unused:UNUSED_PAD src0_sel:WORD_1 src1_sel:WORD_1
	v_fmamk_f16 v22, v7, 0x3b9c, v19
	v_fmac_f16_e32 v19, 0xbb9c, v7
	v_pack_b32_f16 v5, v5, v26
	v_sub_f16_e32 v25, v8, v21
	v_sub_f16_e32 v26, v23, v24
	v_fmamk_f16 v27, v15, 0xbb9c, v0
	v_fmac_f16_e32 v0, 0x3b9c, v15
	v_fmac_f16_e32 v22, 0x38b4, v15
	;; [unrolled: 1-line block ×3, first 2 shown]
	v_add_f16_e32 v15, v25, v26
	v_fmac_f16_e32 v27, 0x38b4, v7
	v_fmac_f16_e32 v0, 0xb8b4, v7
	;; [unrolled: 1-line block ×3, first 2 shown]
	v_add_f16_sdwa v7, v17, v21 dst_sel:DWORD dst_unused:UNUSED_PAD src0_sel:DWORD src1_sel:WORD_1
	v_fmac_f16_e32 v19, 0x34f2, v6
	v_add_f16_e32 v6, v9, v8
	v_add_f16_sdwa v9, v8, v23 dst_sel:DWORD dst_unused:UNUSED_PAD src0_sel:WORD_1 src1_sel:WORD_1
	v_fma_f16 v53, -0.5, v78, v63
	v_fmac_f16_e32 v20, 0x34f2, v14
	v_fmac_f16_e32 v131, 0x34f2, v14
	;; [unrolled: 1-line block ×4, first 2 shown]
	v_add_f16_sdwa v7, v7, v8 dst_sel:DWORD dst_unused:UNUSED_PAD src0_sel:DWORD src1_sel:WORD_1
	v_sub_f16_e32 v14, v8, v23
	v_sub_f16_sdwa v15, v21, v8 dst_sel:DWORD dst_unused:UNUSED_PAD src0_sel:WORD_1 src1_sel:WORD_1
	v_sub_f16_sdwa v8, v8, v21 dst_sel:DWORD dst_unused:UNUSED_PAD src0_sel:WORD_1 src1_sel:WORD_1
	v_sub_f16_e32 v25, v21, v24
	v_add_f16_sdwa v21, v21, v24 dst_sel:DWORD dst_unused:UNUSED_PAD src0_sel:WORD_1 src1_sel:WORD_1
	v_fma_f16 v9, -0.5, v9, v17
	v_fmac_f16_e32 v63, -0.5, v71
	v_add_f16_e32 v51, v70, v80
	v_fmac_f16_e32 v43, 0xbb9c, v55
	v_fmac_f16_e32 v46, 0x3b9c, v59
	v_fmamk_f16 v70, v65, 0x3b9c, v58
	v_fmamk_f16 v73, v69, 0xbb9c, v53
	v_fmac_f16_e32 v66, 0x38b4, v55
	v_fmac_f16_e32 v67, 0xb8b4, v59
	v_sub_f16_sdwa v26, v24, v23 dst_sel:DWORD dst_unused:UNUSED_PAD src0_sel:WORD_1 src1_sel:WORD_1
	v_fmamk_f16 v28, v25, 0xbb9c, v9
	v_fmac_f16_e32 v9, 0x3b9c, v25
	v_fmac_f16_e32 v17, -0.5, v21
	v_fmamk_f16 v71, v74, 0xbb9c, v2
	v_fmac_f16_e32 v2, 0x3b9c, v74
	v_fmamk_f16 v75, v79, 0x3b9c, v63
	v_fmac_f16_e32 v63, 0xbb9c, v79
	v_fmac_f16_e32 v43, 0xb8b4, v48
	;; [unrolled: 1-line block ×7, first 2 shown]
	v_add_f16_e32 v6, v6, v23
	v_add_f16_sdwa v7, v7, v23 dst_sel:DWORD dst_unused:UNUSED_PAD src0_sel:DWORD src1_sel:WORD_1
	v_sub_f16_sdwa v23, v23, v24 dst_sel:DWORD dst_unused:UNUSED_PAD src0_sel:WORD_1 src1_sel:WORD_1
	v_add_f16_e32 v15, v15, v26
	v_fmac_f16_e32 v28, 0xb8b4, v14
	v_fmac_f16_e32 v9, 0x38b4, v14
	v_fmamk_f16 v21, v14, 0x3b9c, v17
	v_fmac_f16_e32 v17, 0xbb9c, v14
	v_add_co_u32 v64, null, 0xfa, v110
	v_add_f16_e32 v50, v68, v77
	v_add_f16_e32 v54, v72, v126
	v_fmac_f16_e32 v71, 0x38b4, v65
	v_fmac_f16_e32 v2, 0xb8b4, v65
	;; [unrolled: 1-line block ×10, first 2 shown]
	v_fmamk_f16 v1, v133, 0x3b9c, v57
	v_add_f16_e32 v8, v8, v23
	v_fmac_f16_e32 v21, 0xb8b4, v25
	v_fmac_f16_e32 v17, 0x38b4, v25
	v_pack_b32_f16 v14, v66, v67
	v_fmac_f16_e32 v28, 0x34f2, v15
	v_fmac_f16_e32 v9, 0x34f2, v15
	v_mul_u32_u24_e32 v15, 5, v64
	v_fmac_f16_e32 v71, 0x34f2, v50
	v_fmac_f16_e32 v2, 0x34f2, v50
	;; [unrolled: 1-line block ×7, first 2 shown]
	v_add_co_u32 v68, null, 0x177, v110
	v_fmac_f16_e32 v21, 0x34f2, v8
	v_fmac_f16_e32 v17, 0x34f2, v8
	ds_write2_b32 v128, v14, v5 offset0:2 offset1:3
	v_pack_b32_f16 v5, v43, v46
	v_lshlrev_b32_e32 v130, 2, v15
	v_pack_b32_f16 v8, v70, v73
	v_pack_b32_f16 v12, v16, v12
	v_and_b32_e32 v33, 0xff, v30
	v_pack_b32_f16 v2, v2, v63
	v_pack_b32_f16 v14, v71, v75
	v_fmac_f16_e32 v58, 0x34f2, v49
	v_fmac_f16_e32 v53, 0x34f2, v51
	;; [unrolled: 1-line block ×3, first 2 shown]
	ds_write_b32 v128, v5 offset:16
	v_mul_u32_u24_e32 v5, 5, v68
	ds_write2_b32 v130, v12, v8 offset1:1
	ds_write2_b32 v130, v14, v2 offset0:2 offset1:3
	v_mul_lo_u16 v2, 0xcd, v33
	v_fmac_f16_e32 v57, 0xbb9c, v133
	v_pack_b32_f16 v8, v58, v53
	v_lshlrev_b32_e32 v129, 2, v5
	v_pack_b32_f16 v1, v1, v18
	v_pack_b32_f16 v5, v13, v4
	v_lshrrev_b16 v4, 10, v2
	v_and_b32_e32 v32, 0xff, v38
	v_pack_b32_f16 v2, v3, v131
	v_pack_b32_f16 v3, v10, v20
	v_fmac_f16_e32 v57, 0xb8b4, v134
	ds_write_b32 v130, v8 offset:16
	v_mul_lo_u16 v10, v4, 5
	ds_write2_b32 v129, v5, v1 offset1:1
	ds_write2_b32 v129, v3, v2 offset0:2 offset1:3
	v_mul_lo_u16 v1, 0xcd, v32
	v_add_co_u32 v72, null, 0x1f4, v110
	v_fmac_f16_e32 v57, 0x34f2, v56
	v_add_f16_e32 v6, v6, v24
	v_add_f16_sdwa v7, v7, v24 dst_sel:DWORD dst_unused:UNUSED_PAD src0_sel:DWORD src1_sel:WORD_1
	v_sub_nc_u16 v3, v30, v10
	v_lshrrev_b16 v5, 10, v1
	v_mul_u32_u24_e32 v8, 5, v72
	v_pack_b32_f16 v2, v57, v11
	v_pack_b32_f16 v1, v6, v7
	v_and_b32_e32 v7, 0xff, v3
	v_mul_lo_u16 v3, v5, 5
	v_lshlrev_b32_e32 v133, 2, v8
	v_pack_b32_f16 v8, v22, v28
	v_pack_b32_f16 v0, v0, v17
	;; [unrolled: 1-line block ×3, first 2 shown]
	ds_write_b32 v129, v2 offset:16
	ds_write2_b32 v133, v1, v8 offset1:1
	ds_write2_b32 v133, v6, v0 offset0:2 offset1:3
	v_sub_nc_u16 v0, v38, v3
	v_pack_b32_f16 v9, v19, v9
	v_lshlrev_b32_e32 v1, 4, v7
	v_mov_b32_e32 v12, 0xcccd
	v_and_b32_e32 v6, 0xff, v0
	ds_write_b32 v133, v9 offset:16
	s_waitcnt lgkmcnt(0)
	s_barrier
	buffer_gl0_inv
	global_load_dwordx4 v[0:3], v1, s[2:3]
	v_lshlrev_b32_e32 v8, 4, v6
	v_mul_u32_u24_sdwa v13, v64, v12 dst_sel:DWORD dst_unused:UNUSED_PAD src0_sel:WORD_0 src1_sel:DWORD
	global_load_dwordx4 v[8:11], v8, s[2:3]
	v_lshrrev_b32_e32 v54, 18, v13
	v_mul_lo_u16 v13, v54, 5
	v_sub_nc_u16 v55, v64, v13
	v_lshlrev_b16 v13, 2, v55
	v_mad_u16 v54, v54, 25, v55
	v_lshlrev_b32_sdwa v13, v31, v13 dst_sel:DWORD dst_unused:UNUSED_PAD src0_sel:DWORD src1_sel:WORD_0
	global_load_dwordx4 v[24:27], v13, s[2:3]
	v_mul_u32_u24_sdwa v13, v68, v12 dst_sel:DWORD dst_unused:UNUSED_PAD src0_sel:WORD_0 src1_sel:DWORD
	v_mul_u32_u24_sdwa v12, v72, v12 dst_sel:DWORD dst_unused:UNUSED_PAD src0_sel:WORD_0 src1_sel:DWORD
	v_lshrrev_b32_e32 v37, 18, v13
	v_lshrrev_b32_e32 v34, 18, v12
	v_mul_lo_u16 v13, v37, 5
	v_mul_lo_u16 v12, v34, 5
	v_sub_nc_u16 v39, v68, v13
	v_sub_nc_u16 v35, v72, v12
	v_lshlrev_b16 v13, 2, v39
	v_lshlrev_b16 v14, 2, v35
	v_mad_u16 v37, v37, 25, v39
	v_lshlrev_b32_sdwa v13, v31, v13 dst_sel:DWORD dst_unused:UNUSED_PAD src0_sel:DWORD src1_sel:WORD_0
	global_load_dwordx4 v[20:23], v13, s[2:3]
	v_mov_b32_e32 v13, 25
	v_mul_u32_u24_sdwa v12, v4, v13 dst_sel:DWORD dst_unused:UNUSED_PAD src0_sel:WORD_0 src1_sel:DWORD
	v_mul_u32_u24_sdwa v13, v5, v13 dst_sel:DWORD dst_unused:UNUSED_PAD src0_sel:WORD_0 src1_sel:DWORD
	ds_read2_b32 v[4:5], v118 offset0:116 offset1:241
	ds_read2_b32 v[40:41], v117 offset0:98 offset1:223
	;; [unrolled: 1-line block ×4, first 2 shown]
	ds_read2_b32 v[44:45], v81 offset1:125
	ds_read2_b32 v[46:47], v112 offset0:110 offset1:235
	ds_read2_b32 v[48:49], v108 offset0:80 offset1:205
	v_add_lshl_u32 v127, v12, v7, 2
	v_lshlrev_b32_sdwa v12, v31, v14 dst_sel:DWORD dst_unused:UNUSED_PAD src0_sel:DWORD src1_sel:WORD_0
	v_add_lshl_u32 v126, v13, v6, 2
	ds_read_b32 v36, v81 offset:12000
	ds_read2_b32 v[6:7], v104 offset0:122 offset1:247
	ds_read2_b32 v[50:51], v102 offset0:92 offset1:217
	;; [unrolled: 1-line block ×5, first 2 shown]
	global_load_dwordx4 v[12:15], v12, s[2:3]
	s_waitcnt vmcnt(0) lgkmcnt(0)
	s_barrier
	buffer_gl0_inv
	v_lshrrev_b32_e32 v56, 16, v5
	v_lshrrev_b32_e32 v57, 16, v40
	;; [unrolled: 1-line block ×10, first 2 shown]
	v_mul_f16_sdwa v67, v56, v0 dst_sel:DWORD dst_unused:UNUSED_PAD src0_sel:DWORD src1_sel:WORD_1
	v_mul_f16_sdwa v69, v5, v0 dst_sel:DWORD dst_unused:UNUSED_PAD src0_sel:DWORD src1_sel:WORD_1
	v_mul_f16_sdwa v70, v57, v1 dst_sel:DWORD dst_unused:UNUSED_PAD src0_sel:DWORD src1_sel:WORD_1
	v_mul_f16_sdwa v71, v40, v1 dst_sel:DWORD dst_unused:UNUSED_PAD src0_sel:DWORD src1_sel:WORD_1
	v_mul_f16_sdwa v73, v58, v2 dst_sel:DWORD dst_unused:UNUSED_PAD src0_sel:DWORD src1_sel:WORD_1
	v_mul_f16_sdwa v74, v17, v2 dst_sel:DWORD dst_unused:UNUSED_PAD src0_sel:DWORD src1_sel:WORD_1
	v_mul_f16_sdwa v75, v59, v3 dst_sel:DWORD dst_unused:UNUSED_PAD src0_sel:DWORD src1_sel:WORD_1
	v_mul_f16_sdwa v77, v42, v3 dst_sel:DWORD dst_unused:UNUSED_PAD src0_sel:DWORD src1_sel:WORD_1
	v_mul_f16_sdwa v78, v61, v9 dst_sel:DWORD dst_unused:UNUSED_PAD src0_sel:DWORD src1_sel:WORD_1
	v_mul_f16_sdwa v79, v41, v9 dst_sel:DWORD dst_unused:UNUSED_PAD src0_sel:DWORD src1_sel:WORD_1
	v_mul_f16_sdwa v80, v62, v11 dst_sel:DWORD dst_unused:UNUSED_PAD src0_sel:DWORD src1_sel:WORD_1
	v_mul_f16_sdwa v131, v43, v11 dst_sel:DWORD dst_unused:UNUSED_PAD src0_sel:DWORD src1_sel:WORD_1
	v_mul_f16_sdwa v132, v46, v8 dst_sel:DWORD dst_unused:UNUSED_PAD src0_sel:DWORD src1_sel:WORD_1
	v_mul_f16_sdwa v134, v63, v8 dst_sel:DWORD dst_unused:UNUSED_PAD src0_sel:DWORD src1_sel:WORD_1
	v_mul_f16_sdwa v135, v48, v10 dst_sel:DWORD dst_unused:UNUSED_PAD src0_sel:DWORD src1_sel:WORD_1
	v_mul_f16_sdwa v136, v65, v10 dst_sel:DWORD dst_unused:UNUSED_PAD src0_sel:DWORD src1_sel:WORD_1
	v_fmac_f16_e32 v69, v56, v0
	v_fmac_f16_e32 v71, v57, v1
	v_fma_f16 v5, v5, v0, -v67
	v_fma_f16 v40, v40, v1, -v70
	v_fma_f16 v17, v17, v2, -v73
	v_fma_f16 v42, v42, v3, -v75
	v_fmac_f16_e32 v74, v58, v2
	v_fmac_f16_e32 v77, v59, v3
	v_fma_f16 v41, v41, v9, -v78
	v_fma_f16 v43, v43, v11, -v80
	v_fmac_f16_e32 v79, v61, v9
	v_fmac_f16_e32 v131, v62, v11
	;; [unrolled: 1-line block ×4, first 2 shown]
	v_fma_f16 v46, v46, v8, -v134
	v_fma_f16 v48, v48, v10, -v136
	v_sub_f16_e32 v56, v5, v40
	v_sub_f16_e32 v57, v42, v17
	;; [unrolled: 1-line block ×4, first 2 shown]
	v_add_f16_e32 v61, v44, v5
	v_add_f16_e32 v62, v60, v69
	;; [unrolled: 1-line block ×4, first 2 shown]
	v_sub_f16_e32 v67, v69, v77
	v_sub_f16_e32 v73, v5, v42
	;; [unrolled: 1-line block ×3, first 2 shown]
	v_add_f16_e32 v69, v69, v77
	v_sub_f16_e32 v134, v40, v5
	v_add_f16_e32 v5, v5, v42
	v_sub_f16_e32 v75, v40, v17
	v_sub_f16_e32 v137, v46, v41
	v_add_f16_e32 v141, v45, v46
	v_add_f16_e32 v143, v41, v48
	v_sub_f16_e32 v147, v46, v43
	v_sub_f16_e32 v149, v41, v46
	v_add_f16_e32 v46, v46, v43
	v_add_f16_e32 v56, v56, v57
	;; [unrolled: 1-line block ×5, first 2 shown]
	v_fma_f16 v61, -0.5, v65, v60
	v_fma_f16 v63, -0.5, v63, v44
	v_sub_f16_e32 v70, v71, v74
	v_add_f16_e32 v142, v66, v132
	v_fmac_f16_e32 v60, -0.5, v69
	v_fma_f16 v5, -0.5, v5, v44
	v_sub_f16_e32 v136, v17, v42
	v_fma_f16 v71, -0.5, v143, v45
	v_fmac_f16_e32 v45, -0.5, v46
	v_add_f16_e32 v17, v40, v17
	v_add_f16_e32 v40, v58, v74
	v_fmamk_f16 v46, v67, 0x3b9c, v63
	v_fmamk_f16 v58, v73, 0xbb9c, v61
	v_sub_f16_e32 v80, v74, v77
	v_sub_f16_e32 v139, v132, v79
	v_add_f16_e32 v144, v79, v135
	v_sub_f16_e32 v146, v79, v135
	v_sub_f16_e32 v151, v79, v132
	v_add_f16_e32 v44, v142, v79
	v_fmamk_f16 v74, v70, 0xbb9c, v5
	v_fmac_f16_e32 v5, 0x3b9c, v70
	v_fmamk_f16 v79, v75, 0x3b9c, v60
	v_fmac_f16_e32 v60, 0xbb9c, v75
	v_fmac_f16_e32 v46, 0x38b4, v70
	;; [unrolled: 1-line block ×3, first 2 shown]
	v_sub_f16_e32 v148, v41, v48
	v_add_f16_e32 v59, v134, v136
	v_add_f16_e32 v62, v78, v80
	;; [unrolled: 1-line block ×3, first 2 shown]
	v_fmac_f16_e32 v74, 0x38b4, v67
	v_fmac_f16_e32 v5, 0xb8b4, v67
	;; [unrolled: 1-line block ×4, first 2 shown]
	v_sub_f16_e32 v145, v132, v131
	v_add_f16_e32 v132, v132, v131
	v_add_f16_e32 v17, v17, v42
	;; [unrolled: 1-line block ×3, first 2 shown]
	v_fmac_f16_e32 v46, 0x34f2, v56
	v_fmac_f16_e32 v58, 0x34f2, v57
	v_add_f16_e32 v41, v41, v48
	v_fmac_f16_e32 v74, 0x34f2, v59
	v_fmac_f16_e32 v5, 0x34f2, v59
	;; [unrolled: 1-line block ×4, first 2 shown]
	v_fma_f16 v78, -0.5, v144, v66
	v_fmac_f16_e32 v66, -0.5, v132
	v_pack_b32_f16 v17, v17, v40
	v_pack_b32_f16 v40, v46, v58
	v_sub_f16_e32 v138, v43, v48
	v_sub_f16_e32 v150, v48, v43
	v_add_f16_e32 v41, v41, v43
	v_pack_b32_f16 v43, v74, v79
	v_pack_b32_f16 v5, v5, v60
	v_sub_f16_e32 v152, v135, v131
	v_fmac_f16_e32 v63, 0xbb9c, v67
	v_fmac_f16_e32 v61, 0x3b9c, v73
	v_fmamk_f16 v132, v146, 0xbb9c, v45
	v_fmac_f16_e32 v45, 0x3b9c, v146
	ds_write2_b32 v127, v17, v40 offset1:5
	ds_write2_b32 v127, v43, v5 offset0:10 offset1:15
	v_fmamk_f16 v5, v148, 0x3b9c, v66
	v_fmac_f16_e32 v66, 0xbb9c, v148
	v_sub_f16_e32 v140, v131, v135
	v_fmamk_f16 v48, v145, 0x3b9c, v71
	v_fmamk_f16 v80, v147, 0xbb9c, v78
	v_fmac_f16_e32 v63, 0xb8b4, v70
	v_fmac_f16_e32 v61, 0x38b4, v75
	v_add_f16_e32 v17, v149, v150
	v_add_f16_e32 v40, v151, v152
	v_fmac_f16_e32 v45, 0xb8b4, v145
	v_fmac_f16_e32 v66, 0x38b4, v147
	;; [unrolled: 1-line block ×3, first 2 shown]
	v_add_f16_e32 v65, v137, v138
	v_add_f16_e32 v69, v139, v140
	;; [unrolled: 1-line block ×3, first 2 shown]
	v_fmac_f16_e32 v48, 0x38b4, v146
	v_fmac_f16_e32 v80, 0xb8b4, v148
	;; [unrolled: 1-line block ×8, first 2 shown]
	v_lshrrev_b32_e32 v40, 16, v47
	v_add_f16_e32 v42, v44, v131
	v_fmac_f16_e32 v48, 0x34f2, v65
	v_fmac_f16_e32 v80, 0x34f2, v69
	;; [unrolled: 1-line block ×3, first 2 shown]
	v_pack_b32_f16 v17, v63, v61
	v_pack_b32_f16 v43, v45, v66
	v_mul_f16_sdwa v45, v40, v24 dst_sel:DWORD dst_unused:UNUSED_PAD src0_sel:DWORD src1_sel:WORD_1
	v_pack_b32_f16 v41, v41, v42
	v_pack_b32_f16 v42, v48, v80
	;; [unrolled: 1-line block ×3, first 2 shown]
	v_lshrrev_b32_e32 v44, 16, v49
	ds_write_b32 v127, v17 offset:80
	ds_write2_b32 v126, v41, v42 offset1:5
	ds_write2_b32 v126, v5, v43 offset0:10 offset1:15
	v_fma_f16 v17, v47, v24, -v45
	v_mul_f16_sdwa v41, v47, v24 dst_sel:DWORD dst_unused:UNUSED_PAD src0_sel:DWORD src1_sel:WORD_1
	v_lshrrev_b32_e32 v43, 16, v50
	v_lshrrev_b32_e32 v45, 16, v52
	v_mul_f16_sdwa v5, v44, v26 dst_sel:DWORD dst_unused:UNUSED_PAD src0_sel:DWORD src1_sel:WORD_1
	v_mul_f16_sdwa v42, v49, v26 dst_sel:DWORD dst_unused:UNUSED_PAD src0_sel:DWORD src1_sel:WORD_1
	v_fmac_f16_e32 v41, v40, v24
	v_mul_f16_sdwa v40, v43, v25 dst_sel:DWORD dst_unused:UNUSED_PAD src0_sel:DWORD src1_sel:WORD_1
	v_mul_f16_sdwa v46, v45, v27 dst_sel:DWORD dst_unused:UNUSED_PAD src0_sel:DWORD src1_sel:WORD_1
	v_mul_f16_sdwa v47, v50, v25 dst_sel:DWORD dst_unused:UNUSED_PAD src0_sel:DWORD src1_sel:WORD_1
	v_fma_f16 v5, v49, v26, -v5
	v_fmac_f16_e32 v42, v44, v26
	v_fma_f16 v40, v50, v25, -v40
	v_fma_f16 v44, v52, v27, -v46
	v_fmac_f16_e32 v47, v43, v25
	v_lshrrev_b32_e32 v43, 16, v6
	v_mul_f16_sdwa v46, v52, v27 dst_sel:DWORD dst_unused:UNUSED_PAD src0_sel:DWORD src1_sel:WORD_1
	v_sub_f16_e32 v48, v17, v40
	v_sub_f16_e32 v49, v44, v5
	v_add_f16_e32 v50, v6, v17
	v_add_f16_e32 v52, v43, v41
	v_fmac_f16_e32 v46, v45, v27
	v_sub_f16_e32 v56, v41, v47
	v_add_f16_e32 v45, v48, v49
	v_add_f16_e32 v48, v50, v40
	;; [unrolled: 1-line block ×3, first 2 shown]
	v_sub_f16_e32 v58, v46, v42
	v_add_f16_e32 v50, v40, v5
	v_add_f16_e32 v59, v47, v42
	;; [unrolled: 1-line block ×6, first 2 shown]
	v_sub_f16_e32 v62, v17, v44
	v_sub_f16_e32 v55, v40, v5
	;; [unrolled: 1-line block ×3, first 2 shown]
	v_add_f16_e32 v40, v41, v46
	v_fma_f16 v50, -0.5, v50, v6
	v_sub_f16_e32 v57, v41, v46
	v_add_f16_e32 v48, v48, v44
	v_add_f16_e32 v49, v49, v46
	v_sub_f16_e32 v61, v47, v42
	v_fma_f16 v59, -0.5, v59, v43
	v_fma_f16 v6, -0.5, v58, v6
	v_sub_f16_e32 v5, v5, v44
	v_fmac_f16_e32 v43, -0.5, v40
	v_fmac_f16_e32 v71, 0xbb9c, v145
	v_fmac_f16_e32 v78, 0x3b9c, v147
	v_fmamk_f16 v60, v57, 0x3b9c, v50
	v_pack_b32_f16 v48, v48, v49
	v_fmamk_f16 v49, v62, 0xbb9c, v59
	v_fmamk_f16 v40, v61, 0xbb9c, v6
	v_fmac_f16_e32 v6, 0x3b9c, v61
	v_add_f16_e32 v5, v17, v5
	v_sub_f16_e32 v17, v47, v41
	v_sub_f16_e32 v41, v42, v46
	v_fmamk_f16 v42, v55, 0x3b9c, v43
	v_fmac_f16_e32 v43, 0xbb9c, v55
	v_fmac_f16_e32 v71, 0xb8b4, v146
	;; [unrolled: 1-line block ×7, first 2 shown]
	v_add_f16_e32 v17, v17, v41
	v_fmac_f16_e32 v42, 0xb8b4, v62
	v_fmac_f16_e32 v43, 0x38b4, v62
	;; [unrolled: 1-line block ×8, first 2 shown]
	v_lshrrev_b32_e32 v5, 16, v51
	v_fmac_f16_e32 v42, 0x34f2, v17
	v_fmac_f16_e32 v43, 0x34f2, v17
	v_pack_b32_f16 v52, v71, v78
	v_pack_b32_f16 v17, v60, v49
	v_lshlrev_b32_sdwa v131, v31, v54 dst_sel:DWORD dst_unused:UNUSED_PAD src0_sel:DWORD src1_sel:WORD_0
	v_mul_f16_sdwa v41, v5, v21 dst_sel:DWORD dst_unused:UNUSED_PAD src0_sel:DWORD src1_sel:WORD_1
	v_pack_b32_f16 v40, v40, v42
	v_pack_b32_f16 v6, v6, v43
	ds_write_b32 v126, v52 offset:80
	v_lshrrev_b32_e32 v42, 16, v53
	ds_write2_b32 v131, v48, v17 offset1:5
	ds_write2_b32 v131, v40, v6 offset0:10 offset1:15
	v_fma_f16 v6, v51, v21, -v41
	v_lshrrev_b32_e32 v41, 16, v28
	v_lshrrev_b32_e32 v43, 16, v18
	v_mul_f16_sdwa v17, v51, v21 dst_sel:DWORD dst_unused:UNUSED_PAD src0_sel:DWORD src1_sel:WORD_1
	v_mul_f16_sdwa v40, v42, v23 dst_sel:DWORD dst_unused:UNUSED_PAD src0_sel:DWORD src1_sel:WORD_1
	v_fmac_f16_e32 v50, 0xbb9c, v57
	v_mul_f16_sdwa v44, v53, v23 dst_sel:DWORD dst_unused:UNUSED_PAD src0_sel:DWORD src1_sel:WORD_1
	v_mul_f16_sdwa v46, v41, v20 dst_sel:DWORD dst_unused:UNUSED_PAD src0_sel:DWORD src1_sel:WORD_1
	;; [unrolled: 1-line block ×3, first 2 shown]
	v_fma_f16 v40, v53, v23, -v40
	v_fmac_f16_e32 v50, 0xb8b4, v61
	v_fmac_f16_e32 v17, v5, v21
	;; [unrolled: 1-line block ×3, first 2 shown]
	v_fma_f16 v5, v28, v20, -v46
	v_fma_f16 v42, v18, v22, -v47
	v_mul_f16_sdwa v28, v28, v20 dst_sel:DWORD dst_unused:UNUSED_PAD src0_sel:DWORD src1_sel:WORD_1
	v_mul_f16_sdwa v18, v18, v22 dst_sel:DWORD dst_unused:UNUSED_PAD src0_sel:DWORD src1_sel:WORD_1
	v_fmac_f16_e32 v50, 0x34f2, v45
	v_sub_f16_e32 v45, v5, v6
	v_sub_f16_e32 v46, v40, v42
	v_fmac_f16_e32 v28, v41, v20
	v_fmac_f16_e32 v18, v43, v22
	v_lshrrev_b32_e32 v41, 16, v7
	v_fmac_f16_e32 v59, 0x3b9c, v62
	v_add_f16_e32 v43, v45, v46
	v_add_f16_e32 v45, v7, v5
	v_sub_f16_e32 v46, v28, v17
	v_sub_f16_e32 v47, v44, v18
	v_add_f16_e32 v48, v41, v28
	v_fmac_f16_e32 v59, 0x38b4, v55
	v_add_f16_e32 v45, v45, v6
	v_sub_f16_e32 v51, v28, v44
	v_add_f16_e32 v46, v46, v47
	v_add_f16_e32 v47, v48, v17
	v_fmac_f16_e32 v59, 0x34f2, v56
	v_add_f16_e32 v45, v45, v42
	v_add_f16_e32 v48, v17, v18
	v_sub_f16_e32 v52, v5, v40
	v_add_f16_e32 v47, v47, v18
	v_pack_b32_f16 v49, v50, v59
	v_add_f16_e32 v45, v45, v40
	v_add_f16_e32 v50, v6, v42
	v_fma_f16 v48, -0.5, v48, v41
	v_add_f16_e32 v47, v47, v44
	v_sub_f16_e32 v54, v17, v18
	v_sub_f16_e32 v56, v6, v42
	v_fma_f16 v50, -0.5, v50, v7
	v_fmamk_f16 v55, v52, 0xbb9c, v48
	v_pack_b32_f16 v39, v45, v47
	v_add_f16_e32 v45, v5, v40
	v_add_f16_e32 v47, v28, v44
	v_fmamk_f16 v53, v51, 0x3b9c, v50
	v_sub_f16_e32 v5, v6, v5
	v_sub_f16_e32 v6, v42, v40
	v_fmac_f16_e32 v7, -0.5, v45
	v_sub_f16_e32 v17, v17, v28
	v_sub_f16_e32 v18, v18, v44
	v_fmac_f16_e32 v53, 0x38b4, v54
	v_fmac_f16_e32 v55, 0xb8b4, v56
	v_fmamk_f16 v28, v54, 0xbb9c, v7
	v_fmac_f16_e32 v7, 0x3b9c, v54
	v_add_f16_e32 v5, v5, v6
	v_add_f16_e32 v6, v17, v18
	v_lshrrev_b32_e32 v18, 16, v29
	v_fmac_f16_e32 v28, 0x38b4, v51
	v_fmac_f16_e32 v7, 0xb8b4, v51
	;; [unrolled: 1-line block ×4, first 2 shown]
	v_lshrrev_b32_e32 v42, 16, v16
	v_mul_f16_sdwa v44, v18, v12 dst_sel:DWORD dst_unused:UNUSED_PAD src0_sel:DWORD src1_sel:WORD_1
	v_fmac_f16_e32 v7, 0x34f2, v5
	v_fmac_f16_e32 v28, 0x34f2, v5
	v_lshrrev_b32_e32 v5, 16, v19
	v_fmac_f16_e32 v41, -0.5, v47
	v_pack_b32_f16 v17, v53, v55
	v_mul_f16_sdwa v45, v42, v13 dst_sel:DWORD dst_unused:UNUSED_PAD src0_sel:DWORD src1_sel:WORD_1
	v_fma_f16 v44, v29, v12, -v44
	v_lshrrev_b32_e32 v47, 16, v36
	v_mul_f16_sdwa v53, v5, v14 dst_sel:DWORD dst_unused:UNUSED_PAD src0_sel:DWORD src1_sel:WORD_1
	v_mul_f16_sdwa v29, v29, v12 dst_sel:DWORD dst_unused:UNUSED_PAD src0_sel:DWORD src1_sel:WORD_1
	v_fmamk_f16 v40, v56, 0x3b9c, v41
	v_fmac_f16_e32 v41, 0xbb9c, v56
	v_fma_f16 v45, v16, v13, -v45
	v_mul_f16_sdwa v55, v47, v15 dst_sel:DWORD dst_unused:UNUSED_PAD src0_sel:DWORD src1_sel:WORD_1
	v_fma_f16 v53, v19, v14, -v53
	v_fmac_f16_e32 v29, v18, v12
	v_mul_f16_sdwa v18, v36, v15 dst_sel:DWORD dst_unused:UNUSED_PAD src0_sel:DWORD src1_sel:WORD_1
	v_fmac_f16_e32 v41, 0x38b4, v52
	v_fmac_f16_e32 v40, 0xb8b4, v52
	v_mul_f16_sdwa v16, v16, v13 dst_sel:DWORD dst_unused:UNUSED_PAD src0_sel:DWORD src1_sel:WORD_1
	v_mul_f16_sdwa v19, v19, v14 dst_sel:DWORD dst_unused:UNUSED_PAD src0_sel:DWORD src1_sel:WORD_1
	v_fma_f16 v36, v36, v15, -v55
	v_add_f16_e32 v55, v45, v53
	v_fmac_f16_e32 v18, v47, v15
	v_fmac_f16_e32 v41, 0x34f2, v6
	v_fmac_f16_e32 v40, 0x34f2, v6
	v_fmac_f16_e32 v16, v42, v13
	v_fmac_f16_e32 v19, v5, v14
	v_fma_f16 v42, -0.5, v55, v4
	v_sub_f16_e32 v66, v29, v18
	v_lshlrev_b32_sdwa v132, v31, v37 dst_sel:DWORD dst_unused:UNUSED_PAD src0_sel:DWORD src1_sel:WORD_0
	v_pack_b32_f16 v7, v7, v41
	v_pack_b32_f16 v28, v28, v40
	v_add_f16_e32 v5, v44, v36
	v_lshrrev_b32_e32 v47, 16, v4
	v_add_f16_e32 v55, v4, v44
	v_sub_f16_e32 v61, v16, v19
	ds_write_b32 v131, v49 offset:80
	ds_write2_b32 v132, v39, v17 offset1:5
	ds_write2_b32 v132, v28, v7 offset0:10 offset1:15
	v_sub_f16_e32 v17, v44, v45
	v_sub_f16_e32 v28, v36, v53
	v_fmamk_f16 v37, v66, 0x3b9c, v42
	v_fmac_f16_e32 v42, 0xbb9c, v66
	v_add_f16_e32 v57, v16, v19
	v_fmac_f16_e32 v4, -0.5, v5
	v_add_f16_e32 v58, v29, v18
	v_add_f16_e32 v60, v47, v29
	;; [unrolled: 1-line block ×4, first 2 shown]
	v_fmac_f16_e32 v37, 0x38b4, v61
	v_fmac_f16_e32 v42, 0xb8b4, v61
	v_sub_f16_e32 v5, v45, v44
	v_sub_f16_e32 v59, v53, v36
	v_fma_f16 v57, -0.5, v57, v47
	v_fmac_f16_e32 v47, -0.5, v58
	v_sub_f16_e32 v58, v16, v29
	v_fmamk_f16 v65, v61, 0xbb9c, v4
	v_fmac_f16_e32 v4, 0x3b9c, v61
	v_sub_f16_e32 v69, v44, v36
	v_add_f16_e32 v7, v7, v53
	v_fmac_f16_e32 v37, 0x34f2, v17
	v_fmac_f16_e32 v42, 0x34f2, v17
	v_add_f16_e32 v17, v60, v16
	v_sub_f16_e32 v16, v29, v16
	v_mul_lo_u16 v29, v33, 41
	v_sub_f16_e32 v62, v45, v53
	v_add_f16_e32 v5, v5, v59
	v_fmac_f16_e32 v4, 0xb8b4, v66
	v_fmac_f16_e32 v50, 0xbb9c, v51
	v_fmac_f16_e32 v48, 0x3b9c, v52
	v_add_f16_e32 v7, v7, v36
	v_fmac_f16_e32 v65, 0x38b4, v66
	v_sub_f16_e32 v28, v18, v19
	v_fmamk_f16 v36, v69, 0xbb9c, v57
	v_add_f16_e32 v17, v17, v19
	v_lshrrev_b16 v29, 10, v29
	v_fmac_f16_e32 v57, 0x3b9c, v69
	v_sub_f16_e32 v63, v19, v18
	v_fmamk_f16 v67, v62, 0x3b9c, v47
	v_fmac_f16_e32 v47, 0xbb9c, v62
	v_fmac_f16_e32 v4, 0x34f2, v5
	v_fmac_f16_e32 v50, 0xb8b4, v54
	v_fmac_f16_e32 v48, 0x38b4, v56
	v_add_f16_e32 v16, v16, v28
	v_fmac_f16_e32 v36, 0xb8b4, v62
	v_fmac_f16_e32 v65, 0x34f2, v5
	v_add_f16_e32 v5, v17, v18
	v_mul_lo_u16 v17, v29, 25
	v_fmac_f16_e32 v57, 0x38b4, v62
	v_add_f16_e32 v6, v58, v63
	v_fmac_f16_e32 v47, 0x38b4, v69
	v_fmac_f16_e32 v67, 0xb8b4, v69
	v_fmac_f16_e32 v50, 0x34f2, v43
	v_fmac_f16_e32 v48, 0x34f2, v46
	v_fmac_f16_e32 v36, 0x34f2, v16
	v_sub_nc_u16 v17, v30, v17
	v_fmac_f16_e32 v57, 0x34f2, v16
	v_mad_u16 v16, v34, 25, v35
	v_fmac_f16_e32 v47, 0x34f2, v6
	v_fmac_f16_e32 v67, 0x34f2, v6
	v_pack_b32_f16 v6, v50, v48
	v_pack_b32_f16 v5, v7, v5
	v_pack_b32_f16 v7, v37, v36
	v_and_b32_e32 v36, 0xff, v17
	v_lshlrev_b32_sdwa v139, v31, v16 dst_sel:DWORD dst_unused:UNUSED_PAD src0_sel:DWORD src1_sel:WORD_0
	v_pack_b32_f16 v4, v4, v47
	v_pack_b32_f16 v16, v65, v67
	;; [unrolled: 1-line block ×3, first 2 shown]
	ds_write_b32 v132, v6 offset:80
	ds_write2_b32 v139, v5, v7 offset1:5
	ds_write2_b32 v139, v16, v4 offset0:10 offset1:15
	v_lshlrev_b32_e32 v4, 4, v36
	v_mov_b32_e32 v6, 0x47af
	ds_write_b32 v139, v17 offset:80
	s_waitcnt lgkmcnt(0)
	s_barrier
	buffer_gl0_inv
	global_load_dwordx4 v[16:19], v4, s[2:3] offset:80
	v_mul_lo_u16 v4, v32, 41
	ds_read2_b32 v[53:54], v117 offset0:98 offset1:223
	v_mov_b32_e32 v136, 0x7d
	v_lshrrev_b16 v28, 10, v4
	v_mul_u32_u24_sdwa v29, v29, v136 dst_sel:DWORD dst_unused:UNUSED_PAD src0_sel:WORD_0 src1_sel:DWORD
	v_mul_lo_u16 v4, v28, 25
	v_mul_u32_u24_sdwa v28, v28, v136 dst_sel:DWORD dst_unused:UNUSED_PAD src0_sel:WORD_0 src1_sel:DWORD
	v_add_lshl_u32 v134, v29, v36, 2
	v_sub_nc_u16 v4, v38, v4
	v_and_b32_e32 v30, 0xff, v4
	v_lshlrev_b32_e32 v4, 4, v30
	global_load_dwordx4 v[48:51], v4, s[2:3] offset:80
	v_mul_u32_u24_sdwa v4, v64, v6 dst_sel:DWORD dst_unused:UNUSED_PAD src0_sel:WORD_0 src1_sel:DWORD
	v_lshrrev_b32_e32 v4, 16, v4
	v_sub_nc_u16 v5, v64, v4
	v_lshrrev_b16 v5, 1, v5
	v_add_nc_u16 v4, v5, v4
	v_lshrrev_b16 v63, 4, v4
	v_mul_lo_u16 v4, v63, 25
	v_sub_nc_u16 v67, v64, v4
	v_lshlrev_b16 v4, 4, v67
	v_mad_u16 v63, 0x7d, v63, v67
	v_and_b32_e32 v4, 0xffff, v4
	v_add_co_u32 v4, s0, s2, v4
	v_add_co_ci_u32_e64 v5, null, s3, 0, s0
	global_load_dwordx4 v[44:47], v[4:5], off offset:80
	v_mul_u32_u24_sdwa v4, v68, v6 dst_sel:DWORD dst_unused:UNUSED_PAD src0_sel:WORD_0 src1_sel:DWORD
	v_mul_u32_u24_sdwa v6, v72, v6 dst_sel:DWORD dst_unused:UNUSED_PAD src0_sel:WORD_0 src1_sel:DWORD
	v_lshrrev_b32_e32 v4, 16, v4
	v_lshrrev_b32_e32 v32, 16, v6
	v_sub_nc_u16 v5, v68, v4
	v_sub_nc_u16 v33, v72, v32
	v_lshrrev_b16 v5, 1, v5
	v_lshrrev_b16 v33, 1, v33
	v_add_nc_u16 v4, v5, v4
	v_add_nc_u16 v32, v33, v32
	s_waitcnt lgkmcnt(0)
	v_lshrrev_b32_e32 v33, 16, v53
	v_lshrrev_b16 v39, 4, v4
	v_lshrrev_b16 v37, 4, v32
	v_mul_lo_u16 v4, v39, 25
	v_sub_nc_u16 v52, v68, v4
	v_lshlrev_b16 v4, 4, v52
	v_mad_u16 v39, 0x7d, v39, v52
	v_and_b32_e32 v4, 0xffff, v4
	v_add_co_u32 v4, s0, s2, v4
	v_add_co_ci_u32_e64 v5, null, s3, 0, s0
	global_load_dwordx4 v[40:43], v[4:5], off offset:80
	ds_read2_b32 v[4:5], v118 offset0:116 offset1:241
	ds_read2_b32 v[6:7], v116 offset0:86 offset1:211
	ds_read2_b32 v[55:56], v115 offset0:68 offset1:193
	ds_read2_b32 v[57:58], v81 offset1:125
	s_waitcnt lgkmcnt(3)
	v_lshrrev_b32_e32 v34, 16, v5
	s_waitcnt lgkmcnt(1)
	v_lshrrev_b32_e32 v59, 16, v55
	v_lshrrev_b32_e32 v35, 16, v7
	s_waitcnt lgkmcnt(0)
	v_lshrrev_b32_e32 v135, 16, v57
	s_waitcnt vmcnt(3)
	v_mul_f16_sdwa v71, v5, v16 dst_sel:DWORD dst_unused:UNUSED_PAD src0_sel:DWORD src1_sel:WORD_1
	v_mul_f16_sdwa v32, v59, v19 dst_sel:DWORD dst_unused:UNUSED_PAD src0_sel:DWORD src1_sel:WORD_1
	;; [unrolled: 1-line block ×5, first 2 shown]
	v_fmac_f16_e32 v71, v34, v16
	v_mul_f16_sdwa v34, v34, v16 dst_sel:DWORD dst_unused:UNUSED_PAD src0_sel:DWORD src1_sel:WORD_1
	v_fma_f16 v55, v55, v19, -v32
	v_mul_f16_sdwa v75, v53, v17 dst_sel:DWORD dst_unused:UNUSED_PAD src0_sel:DWORD src1_sel:WORD_1
	v_mul_f16_sdwa v79, v7, v18 dst_sel:DWORD dst_unused:UNUSED_PAD src0_sel:DWORD src1_sel:WORD_1
	v_fma_f16 v53, v53, v17, -v60
	v_fma_f16 v73, v5, v16, -v34
	v_mul_lo_u16 v5, v37, 25
	v_fma_f16 v74, v7, v18, -v61
	v_fmac_f16_e32 v75, v33, v17
	v_fmac_f16_e32 v79, v35, v18
	v_add_f16_e32 v34, v57, v73
	v_sub_nc_u16 v5, v72, v5
	v_add_f16_e32 v35, v53, v74
	v_fmac_f16_e32 v80, v59, v19
	v_add_f16_e32 v65, v75, v79
	v_add_f16_e32 v66, v34, v53
	v_lshlrev_b16 v32, 4, v5
	v_fma_f16 v137, -0.5, v35, v57
	v_sub_f16_e32 v7, v73, v53
	v_sub_f16_e32 v59, v55, v74
	v_add_f16_e32 v62, v135, v71
	v_and_b32_e32 v32, 0xffff, v32
	v_sub_f16_e32 v138, v71, v80
	v_fma_f16 v140, -0.5, v65, v135
	v_sub_f16_e32 v141, v73, v55
	v_sub_f16_e32 v60, v71, v75
	v_add_co_u32 v32, s0, s2, v32
	v_add_co_ci_u32_e64 v33, null, s3, 0, s0
	v_sub_f16_e32 v61, v80, v79
	v_add_f16_e32 v142, v7, v59
	v_add_f16_e32 v7, v62, v75
	global_load_dwordx4 v[32:35], v[32:33], off offset:80
	v_fmamk_f16 v59, v138, 0x3b9c, v137
	v_sub_f16_e32 v143, v75, v79
	v_fmamk_f16 v62, v141, 0xbb9c, v140
	v_sub_f16_e32 v144, v53, v74
	v_add_f16_e32 v145, v60, v61
	v_add_f16_e32 v60, v66, v74
	;; [unrolled: 1-line block ×5, first 2 shown]
	v_fmac_f16_e32 v59, 0x38b4, v143
	v_fmac_f16_e32 v62, 0xb8b4, v144
	v_add_f16_e32 v60, v60, v55
	v_sub_f16_e32 v53, v53, v73
	v_sub_f16_e32 v55, v74, v55
	v_fma_f16 v57, -0.5, v77, v57
	v_fmac_f16_e32 v135, -0.5, v146
	v_add_f16_e32 v7, v7, v80
	v_fmac_f16_e32 v59, 0x34f2, v142
	v_fmac_f16_e32 v62, 0x34f2, v145
	v_add_f16_e32 v53, v53, v55
	v_sub_f16_e32 v55, v75, v71
	v_fmamk_f16 v71, v143, 0xbb9c, v57
	v_sub_f16_e32 v75, v79, v80
	v_fmamk_f16 v146, v144, 0x3b9c, v135
	v_fmac_f16_e32 v57, 0x3b9c, v143
	v_fmac_f16_e32 v135, 0xbb9c, v144
	v_pack_b32_f16 v29, v60, v7
	v_pack_b32_f16 v36, v59, v62
	ds_read_b32 v7, v81 offset:12000
	ds_read2_b32 v[59:60], v112 offset0:110 offset1:235
	ds_read2_b32 v[61:62], v108 offset0:80 offset1:205
	;; [unrolled: 1-line block ×4, first 2 shown]
	v_fmac_f16_e32 v71, 0x38b4, v138
	v_add_f16_e32 v55, v55, v75
	v_fmac_f16_e32 v146, 0xb8b4, v141
	v_fmac_f16_e32 v57, 0xb8b4, v138
	;; [unrolled: 1-line block ×4, first 2 shown]
	ds_read2_b32 v[73:74], v99 offset0:62 offset1:187
	v_fmac_f16_e32 v146, 0x34f2, v55
	v_fmac_f16_e32 v57, 0x34f2, v53
	;; [unrolled: 1-line block ×3, first 2 shown]
	v_lshrrev_b32_e32 v53, 16, v54
	ds_read2_b32 v[77:78], v95 offset0:104 offset1:229
	v_pack_b32_f16 v55, v71, v146
	v_lshrrev_b32_e32 v71, 16, v56
	v_pack_b32_f16 v57, v57, v135
	ds_read2_b32 v[79:80], v92 offset0:74 offset1:199
	s_waitcnt vmcnt(0) lgkmcnt(0)
	s_barrier
	v_mul_f16_sdwa v75, v53, v49 dst_sel:DWORD dst_unused:UNUSED_PAD src0_sel:DWORD src1_sel:WORD_1
	buffer_gl0_inv
	ds_write2_b32 v134, v29, v36 offset1:25
	ds_write2_b32 v134, v55, v57 offset0:50 offset1:75
	v_mul_f16_sdwa v29, v71, v51 dst_sel:DWORD dst_unused:UNUSED_PAD src0_sel:DWORD src1_sel:WORD_1
	v_lshrrev_b32_e32 v55, 16, v59
	v_lshrrev_b32_e32 v57, 16, v61
	v_fma_f16 v36, v54, v49, -v75
	v_mul_f16_sdwa v54, v54, v49 dst_sel:DWORD dst_unused:UNUSED_PAD src0_sel:DWORD src1_sel:WORD_1
	v_fma_f16 v29, v56, v51, -v29
	v_mul_f16_sdwa v56, v56, v51 dst_sel:DWORD dst_unused:UNUSED_PAD src0_sel:DWORD src1_sel:WORD_1
	v_mul_f16_sdwa v75, v55, v48 dst_sel:DWORD dst_unused:UNUSED_PAD src0_sel:DWORD src1_sel:WORD_1
	;; [unrolled: 1-line block ×3, first 2 shown]
	v_fmac_f16_e32 v137, 0xbb9c, v138
	v_fmac_f16_e32 v140, 0x3b9c, v141
	;; [unrolled: 1-line block ×4, first 2 shown]
	v_fma_f16 v53, v59, v48, -v75
	v_fma_f16 v71, v61, v50, -v135
	v_mul_f16_sdwa v59, v59, v48 dst_sel:DWORD dst_unused:UNUSED_PAD src0_sel:DWORD src1_sel:WORD_1
	v_mul_f16_sdwa v61, v61, v50 dst_sel:DWORD dst_unused:UNUSED_PAD src0_sel:DWORD src1_sel:WORD_1
	v_fmac_f16_e32 v137, 0xb8b4, v143
	v_fmac_f16_e32 v140, 0x38b4, v144
	v_sub_f16_e32 v75, v53, v36
	v_sub_f16_e32 v135, v29, v71
	v_fmac_f16_e32 v59, v55, v48
	v_fmac_f16_e32 v61, v57, v50
	v_lshrrev_b32_e32 v55, 16, v58
	v_add_f16_e32 v57, v58, v53
	v_fmac_f16_e32 v137, 0x34f2, v142
	v_fmac_f16_e32 v140, 0x34f2, v145
	v_add_f16_e32 v75, v75, v135
	v_sub_f16_e32 v135, v59, v54
	v_sub_f16_e32 v138, v56, v61
	v_add_f16_e32 v141, v55, v59
	v_add_f16_e32 v57, v57, v36
	;; [unrolled: 1-line block ×3, first 2 shown]
	v_pack_b32_f16 v137, v137, v140
	v_add_f16_e32 v140, v53, v29
	v_add_f16_e32 v136, v135, v138
	;; [unrolled: 1-line block ×5, first 2 shown]
	v_fma_f16 v141, -0.5, v142, v58
	v_fmac_f16_e32 v58, -0.5, v140
	v_add_f16_e32 v140, v59, v56
	v_add_lshl_u32 v135, v28, v30, 2
	v_add_f16_e32 v28, v138, v61
	v_add_f16_e32 v30, v57, v29
	v_sub_f16_e32 v138, v53, v29
	v_sub_f16_e32 v53, v36, v53
	;; [unrolled: 1-line block ×6, first 2 shown]
	v_fma_f16 v143, -0.5, v143, v55
	v_fmac_f16_e32 v55, -0.5, v140
	v_add_f16_e32 v29, v53, v29
	v_fmamk_f16 v53, v71, 0xbb9c, v58
	v_fmac_f16_e32 v58, 0x3b9c, v71
	v_fmamk_f16 v57, v142, 0x3b9c, v141
	v_sub_f16_e32 v54, v54, v59
	v_fmamk_f16 v59, v138, 0xbb9c, v143
	v_add_f16_e32 v28, v28, v56
	v_sub_f16_e32 v56, v61, v56
	v_fmamk_f16 v61, v36, 0x3b9c, v55
	v_fmac_f16_e32 v55, 0xbb9c, v36
	v_fmac_f16_e32 v58, 0xb8b4, v142
	;; [unrolled: 1-line block ×5, first 2 shown]
	v_add_f16_e32 v54, v54, v56
	v_fmac_f16_e32 v55, 0x38b4, v138
	v_fmac_f16_e32 v61, 0xb8b4, v138
	;; [unrolled: 1-line block ×4, first 2 shown]
	v_lshrrev_b32_e32 v29, 16, v60
	v_fmac_f16_e32 v57, 0x34f2, v75
	v_fmac_f16_e32 v59, 0x34f2, v136
	;; [unrolled: 1-line block ×4, first 2 shown]
	v_mul_f16_sdwa v56, v29, v44 dst_sel:DWORD dst_unused:UNUSED_PAD src0_sel:DWORD src1_sel:WORD_1
	v_pack_b32_f16 v28, v30, v28
	v_pack_b32_f16 v30, v57, v59
	;; [unrolled: 1-line block ×4, first 2 shown]
	v_lshrrev_b32_e32 v55, 16, v62
	ds_write_b32 v134, v137 offset:400
	ds_write2_b32 v135, v28, v30 offset1:25
	ds_write2_b32 v135, v53, v54 offset0:50 offset1:75
	v_fma_f16 v30, v60, v44, -v56
	v_mul_f16_sdwa v53, v60, v44 dst_sel:DWORD dst_unused:UNUSED_PAD src0_sel:DWORD src1_sel:WORD_1
	v_fmac_f16_e32 v143, 0x3b9c, v138
	v_lshrrev_b32_e32 v56, 16, v69
	v_lshrrev_b32_e32 v57, 16, v73
	v_mul_f16_sdwa v28, v55, v46 dst_sel:DWORD dst_unused:UNUSED_PAD src0_sel:DWORD src1_sel:WORD_1
	v_mul_f16_sdwa v54, v62, v46 dst_sel:DWORD dst_unused:UNUSED_PAD src0_sel:DWORD src1_sel:WORD_1
	v_fmac_f16_e32 v143, 0x38b4, v36
	v_fmac_f16_e32 v53, v29, v44
	v_mul_f16_sdwa v29, v56, v45 dst_sel:DWORD dst_unused:UNUSED_PAD src0_sel:DWORD src1_sel:WORD_1
	v_mul_f16_sdwa v36, v57, v47 dst_sel:DWORD dst_unused:UNUSED_PAD src0_sel:DWORD src1_sel:WORD_1
	;; [unrolled: 1-line block ×3, first 2 shown]
	v_fma_f16 v28, v62, v46, -v28
	v_fmac_f16_e32 v54, v55, v46
	v_fma_f16 v29, v69, v45, -v29
	v_fma_f16 v36, v73, v47, -v36
	v_fmac_f16_e32 v58, v56, v45
	v_lshrrev_b32_e32 v55, 16, v65
	v_mul_f16_sdwa v56, v73, v47 dst_sel:DWORD dst_unused:UNUSED_PAD src0_sel:DWORD src1_sel:WORD_1
	v_fmac_f16_e32 v141, 0xbb9c, v142
	v_sub_f16_e32 v59, v30, v29
	v_sub_f16_e32 v60, v36, v28
	v_add_f16_e32 v61, v65, v30
	v_add_f16_e32 v62, v55, v53
	v_fmac_f16_e32 v56, v57, v47
	v_fmac_f16_e32 v141, 0xb8b4, v71
	v_add_f16_e32 v57, v59, v60
	v_add_f16_e32 v59, v61, v29
	;; [unrolled: 1-line block ×3, first 2 shown]
	v_sub_f16_e32 v69, v53, v58
	v_sub_f16_e32 v73, v56, v54
	v_fmac_f16_e32 v141, 0x34f2, v75
	v_add_f16_e32 v61, v29, v28
	v_add_f16_e32 v59, v59, v28
	;; [unrolled: 1-line block ×6, first 2 shown]
	v_sub_f16_e32 v140, v30, v36
	v_sub_f16_e32 v67, v29, v28
	;; [unrolled: 1-line block ×3, first 2 shown]
	v_add_f16_e32 v30, v53, v56
	v_fma_f16 v61, -0.5, v61, v65
	v_sub_f16_e32 v71, v53, v56
	v_add_f16_e32 v59, v59, v36
	v_add_f16_e32 v60, v60, v56
	v_sub_f16_e32 v137, v58, v54
	v_fma_f16 v75, -0.5, v75, v55
	v_sub_f16_e32 v28, v28, v36
	v_fma_f16 v36, -0.5, v73, v65
	v_fmac_f16_e32 v55, -0.5, v30
	v_fmac_f16_e32 v143, 0x34f2, v136
	v_fmamk_f16 v136, v71, 0x3b9c, v61
	v_pack_b32_f16 v59, v59, v60
	v_fmamk_f16 v60, v140, 0xbb9c, v75
	v_fmamk_f16 v30, v137, 0xbb9c, v36
	v_fmac_f16_e32 v36, 0x3b9c, v137
	v_add_f16_e32 v28, v29, v28
	v_sub_f16_e32 v29, v58, v53
	v_sub_f16_e32 v53, v54, v56
	v_fmamk_f16 v54, v67, 0x3b9c, v55
	v_fmac_f16_e32 v55, 0xbb9c, v67
	v_fmac_f16_e32 v136, 0x38b4, v137
	;; [unrolled: 1-line block ×5, first 2 shown]
	v_add_f16_e32 v29, v29, v53
	v_fmac_f16_e32 v54, 0xb8b4, v140
	v_fmac_f16_e32 v55, 0x38b4, v140
	;; [unrolled: 1-line block ×6, first 2 shown]
	v_lshrrev_b32_e32 v28, 16, v70
	v_fmac_f16_e32 v54, 0x34f2, v29
	v_fmac_f16_e32 v55, 0x34f2, v29
	v_pack_b32_f16 v62, v141, v143
	v_pack_b32_f16 v29, v136, v60
	v_lshlrev_b32_sdwa v138, v31, v63 dst_sel:DWORD dst_unused:UNUSED_PAD src0_sel:DWORD src1_sel:WORD_0
	v_mul_f16_sdwa v53, v28, v41 dst_sel:DWORD dst_unused:UNUSED_PAD src0_sel:DWORD src1_sel:WORD_1
	v_pack_b32_f16 v30, v30, v54
	v_pack_b32_f16 v36, v36, v55
	ds_write_b32 v135, v62 offset:400
	ds_write2_b32 v138, v59, v29 offset1:25
	ds_write2_b32 v138, v30, v36 offset0:50 offset1:75
	v_fma_f16 v29, v70, v41, -v53
	v_lshrrev_b32_e32 v53, 16, v77
	v_lshrrev_b32_e32 v55, 16, v79
	;; [unrolled: 1-line block ×3, first 2 shown]
	v_mul_f16_sdwa v30, v70, v41 dst_sel:DWORD dst_unused:UNUSED_PAD src0_sel:DWORD src1_sel:WORD_1
	v_fmac_f16_e32 v61, 0xbb9c, v71
	v_mul_f16_sdwa v58, v53, v40 dst_sel:DWORD dst_unused:UNUSED_PAD src0_sel:DWORD src1_sel:WORD_1
	v_mul_f16_sdwa v59, v55, v42 dst_sel:DWORD dst_unused:UNUSED_PAD src0_sel:DWORD src1_sel:WORD_1
	;; [unrolled: 1-line block ×4, first 2 shown]
	v_fmac_f16_e32 v61, 0xb8b4, v137
	v_fmac_f16_e32 v30, v28, v41
	v_fma_f16 v28, v77, v40, -v58
	v_fma_f16 v58, v79, v42, -v59
	v_mul_f16_sdwa v59, v77, v40 dst_sel:DWORD dst_unused:UNUSED_PAD src0_sel:DWORD src1_sel:WORD_1
	v_fmac_f16_e32 v75, 0x3b9c, v140
	v_fma_f16 v36, v74, v43, -v36
	v_fmac_f16_e32 v56, v54, v43
	v_mul_f16_sdwa v54, v79, v42 dst_sel:DWORD dst_unused:UNUSED_PAD src0_sel:DWORD src1_sel:WORD_1
	v_fmac_f16_e32 v59, v53, v40
	v_fmac_f16_e32 v61, 0x34f2, v57
	v_lshrrev_b32_e32 v57, 16, v66
	v_fmac_f16_e32 v75, 0x38b4, v67
	v_sub_f16_e32 v60, v28, v29
	v_sub_f16_e32 v62, v36, v58
	v_fmac_f16_e32 v54, v55, v42
	v_add_f16_e32 v65, v66, v28
	v_add_f16_e32 v67, v57, v59
	v_sub_f16_e32 v55, v59, v30
	v_add_f16_e32 v53, v60, v62
	v_sub_f16_e32 v62, v56, v54
	v_add_f16_e32 v65, v65, v29
	v_add_f16_e32 v67, v67, v30
	v_fmac_f16_e32 v75, 0x34f2, v69
	v_add_f16_e32 v60, v29, v58
	v_add_f16_e32 v55, v55, v62
	v_add_f16_e32 v62, v65, v58
	v_add_f16_e32 v65, v67, v54
	v_add_f16_e32 v63, v30, v54
	v_pack_b32_f16 v61, v61, v75
	v_add_f16_e32 v52, v28, v36
	v_add_f16_e32 v62, v62, v36
	;; [unrolled: 1-line block ×3, first 2 shown]
	v_fma_f16 v60, -0.5, v60, v66
	v_sub_f16_e32 v69, v59, v56
	v_fma_f16 v63, -0.5, v63, v57
	v_sub_f16_e32 v70, v28, v36
	v_sub_f16_e32 v73, v30, v54
	ds_write_b32 v138, v61 offset:400
	v_pack_b32_f16 v61, v62, v65
	v_add_f16_e32 v65, v59, v56
	v_fmac_f16_e32 v66, -0.5, v52
	v_fmamk_f16 v71, v69, 0x3b9c, v60
	v_fmamk_f16 v74, v70, 0xbb9c, v63
	v_sub_f16_e32 v77, v29, v58
	v_sub_f16_e32 v28, v29, v28
	v_sub_f16_e32 v29, v58, v36
	v_fmac_f16_e32 v57, -0.5, v65
	v_fmamk_f16 v36, v73, 0xbb9c, v66
	v_fmac_f16_e32 v66, 0x3b9c, v73
	v_fmac_f16_e32 v71, 0x38b4, v73
	;; [unrolled: 1-line block ×3, first 2 shown]
	v_lshlrev_b32_sdwa v136, v31, v39 dst_sel:DWORD dst_unused:UNUSED_PAD src0_sel:DWORD src1_sel:WORD_0
	v_sub_f16_e32 v30, v30, v59
	v_sub_f16_e32 v39, v54, v56
	v_fmamk_f16 v52, v77, 0x3b9c, v57
	v_add_f16_e32 v28, v28, v29
	v_fmac_f16_e32 v66, 0xb8b4, v69
	v_fmac_f16_e32 v36, 0x38b4, v69
	;; [unrolled: 1-line block ×5, first 2 shown]
	v_add_f16_e32 v29, v30, v39
	v_fmac_f16_e32 v66, 0x34f2, v28
	v_fmac_f16_e32 v52, 0xb8b4, v70
	;; [unrolled: 1-line block ×3, first 2 shown]
	v_lshrrev_b32_e32 v28, 16, v6
	v_pack_b32_f16 v62, v71, v74
	v_fmac_f16_e32 v57, 0x38b4, v70
	v_lshrrev_b32_e32 v30, 16, v78
	v_fmac_f16_e32 v52, 0x34f2, v29
	v_lshrrev_b32_e32 v39, 16, v80
	v_lshrrev_b32_e32 v58, 16, v7
	ds_write2_b32 v136, v61, v62 offset1:25
	v_fmac_f16_e32 v57, 0x34f2, v29
	v_pack_b32_f16 v36, v36, v52
	v_fmac_f16_e32 v60, 0xbb9c, v69
	v_fmac_f16_e32 v63, 0x3b9c, v70
	v_mad_u16 v5, 0x7d, v37, v5
	v_pack_b32_f16 v54, v66, v57
	v_fmac_f16_e32 v60, 0xb8b4, v73
	v_fmac_f16_e32 v63, 0x38b4, v77
	v_lshlrev_b32_sdwa v140, v31, v5 dst_sel:DWORD dst_unused:UNUSED_PAD src0_sel:DWORD src1_sel:WORD_0
	ds_write2_b32 v136, v36, v54 offset0:50 offset1:75
	v_fmac_f16_e32 v60, 0x34f2, v53
	v_fmac_f16_e32 v63, 0x34f2, v55
	v_mul_f16_sdwa v56, v28, v33 dst_sel:DWORD dst_unused:UNUSED_PAD src0_sel:DWORD src1_sel:WORD_1
	v_mul_f16_sdwa v29, v30, v32 dst_sel:DWORD dst_unused:UNUSED_PAD src0_sel:DWORD src1_sel:WORD_1
	;; [unrolled: 1-line block ×5, first 2 shown]
	v_fma_f16 v56, v6, v33, -v56
	v_mul_f16_sdwa v6, v6, v33 dst_sel:DWORD dst_unused:UNUSED_PAD src0_sel:DWORD src1_sel:WORD_1
	v_fma_f16 v29, v78, v32, -v29
	v_fma_f16 v52, v80, v34, -v52
	v_mul_f16_sdwa v59, v80, v34 dst_sel:DWORD dst_unused:UNUSED_PAD src0_sel:DWORD src1_sel:WORD_1
	v_fmac_f16_e32 v57, v30, v32
	v_fmac_f16_e32 v6, v28, v33
	v_fma_f16 v28, v7, v35, -v61
	v_sub_f16_e32 v30, v29, v56
	v_fmac_f16_e32 v59, v39, v34
	v_lshrrev_b32_e32 v53, 16, v4
	v_add_f16_e32 v55, v4, v29
	v_sub_f16_e32 v39, v28, v52
	v_mul_f16_sdwa v7, v7, v35 dst_sel:DWORD dst_unused:UNUSED_PAD src0_sel:DWORD src1_sel:WORD_1
	v_add_f16_e32 v61, v56, v52
	v_sub_f16_e32 v66, v29, v28
	v_add_f16_e32 v55, v55, v56
	v_add_f16_e32 v30, v30, v39
	v_pack_b32_f16 v39, v60, v63
	v_add_f16_e32 v60, v53, v57
	v_fmac_f16_e32 v7, v58, v35
	v_add_f16_e32 v55, v55, v52
	v_add_f16_e32 v63, v6, v59
	v_fma_f16 v61, -0.5, v61, v4
	v_add_f16_e32 v60, v60, v6
	v_sub_f16_e32 v65, v57, v7
	v_add_f16_e32 v55, v55, v28
	v_fma_f16 v63, -0.5, v63, v53
	v_sub_f16_e32 v69, v6, v59
	v_add_f16_e32 v60, v60, v59
	v_sub_f16_e32 v71, v56, v52
	v_sub_f16_e32 v58, v57, v6
	;; [unrolled: 1-line block ×3, first 2 shown]
	v_fmamk_f16 v67, v65, 0x3b9c, v61
	v_add_f16_e32 v60, v60, v7
	v_fmamk_f16 v70, v66, 0xbb9c, v63
	v_sub_f16_e32 v6, v6, v57
	v_fmac_f16_e32 v61, 0xbb9c, v65
	v_fmac_f16_e32 v63, 0x3b9c, v66
	v_pack_b32_f16 v37, v55, v60
	v_add_f16_e32 v55, v29, v28
	v_add_f16_e32 v60, v57, v7
	v_sub_f16_e32 v29, v56, v29
	v_sub_f16_e32 v28, v52, v28
	;; [unrolled: 1-line block ×3, first 2 shown]
	v_fmac_f16_e32 v4, -0.5, v55
	v_fmac_f16_e32 v53, -0.5, v60
	v_add_f16_e32 v58, v58, v62
	v_fmac_f16_e32 v67, 0x38b4, v69
	v_fmac_f16_e32 v70, 0xb8b4, v71
	v_fmamk_f16 v52, v69, 0xbb9c, v4
	v_fmac_f16_e32 v4, 0x3b9c, v69
	v_fmamk_f16 v55, v71, 0x3b9c, v53
	v_fmac_f16_e32 v53, 0xbb9c, v71
	v_add_f16_e32 v28, v29, v28
	v_add_f16_e32 v6, v6, v7
	v_fmac_f16_e32 v4, 0xb8b4, v65
	v_fmac_f16_e32 v52, 0x38b4, v65
	;; [unrolled: 1-line block ×14, first 2 shown]
	v_pack_b32_f16 v56, v67, v70
	v_pack_b32_f16 v4, v4, v53
	v_pack_b32_f16 v5, v52, v55
	ds_write_b32 v136, v39 offset:400
	ds_write2_b32 v140, v37, v56 offset1:25
	ds_write2_b32 v140, v5, v4 offset0:50 offset1:75
	v_pack_b32_f16 v6, v61, v63
	v_lshlrev_b32_e32 v39, 4, v110
	v_mov_b32_e32 v30, 0x625
	ds_write_b32 v140, v6 offset:400
	s_waitcnt lgkmcnt(0)
	s_barrier
	buffer_gl0_inv
	global_load_dwordx4 v[4:7], v39, s[2:3] offset:480
	v_mul_u32_u24_sdwa v28, v64, v30 dst_sel:DWORD dst_unused:UNUSED_PAD src0_sel:WORD_0 src1_sel:DWORD
	v_lshrrev_b32_e32 v28, 16, v28
	v_sub_nc_u16 v29, v64, v28
	v_lshrrev_b16 v29, 1, v29
	v_add_nc_u16 v28, v29, v28
	v_lshrrev_b16 v28, 6, v28
	v_mul_lo_u16 v28, 0x7d, v28
	v_sub_nc_u16 v65, v64, v28
	v_lshlrev_b32_e32 v64, 4, v64
	v_lshlrev_b16 v28, 4, v65
	v_and_b32_e32 v28, 0xffff, v28
	v_add_co_u32 v28, s0, s2, v28
	v_add_co_ci_u32_e64 v29, null, s3, 0, s0
	global_load_dwordx4 v[60:63], v[28:29], off offset:480
	v_mul_u32_u24_sdwa v28, v68, v30 dst_sel:DWORD dst_unused:UNUSED_PAD src0_sel:WORD_0 src1_sel:DWORD
	v_lshrrev_b32_e32 v28, 16, v28
	v_sub_nc_u16 v29, v68, v28
	v_lshrrev_b16 v29, 1, v29
	v_add_nc_u16 v28, v29, v28
	v_lshrrev_b16 v28, 6, v28
	v_mul_lo_u16 v28, 0x7d, v28
	v_sub_nc_u16 v67, v68, v28
	v_lshlrev_b32_e32 v68, 4, v68
	v_lshlrev_b16 v28, 4, v67
	v_and_b32_e32 v28, 0xffff, v28
	v_add_co_u32 v28, s0, s2, v28
	v_add_co_ci_u32_e64 v29, null, s3, 0, s0
	global_load_dwordx4 v[56:59], v[28:29], off offset:480
	v_mul_u32_u24_sdwa v28, v72, v30 dst_sel:DWORD dst_unused:UNUSED_PAD src0_sel:WORD_0 src1_sel:DWORD
	v_lshrrev_b32_e32 v30, 16, v28
	ds_read2_b32 v[28:29], v118 offset0:116 offset1:241
	ds_read2_b32 v[69:70], v117 offset0:98 offset1:223
	;; [unrolled: 1-line block ×3, first 2 shown]
	ds_read2_b32 v[77:78], v81 offset1:125
	v_sub_nc_u16 v36, v72, v30
	v_lshrrev_b16 v52, 1, v36
	ds_read2_b32 v[36:37], v116 offset0:86 offset1:211
	v_add_nc_u16 v30, v52, v30
	v_lshrrev_b16 v30, 6, v30
	s_waitcnt lgkmcnt(4)
	v_lshrrev_b32_e32 v52, 16, v29
	s_waitcnt lgkmcnt(3)
	v_lshrrev_b32_e32 v53, 16, v69
	s_waitcnt lgkmcnt(2)
	v_lshrrev_b32_e32 v80, 16, v73
	s_waitcnt lgkmcnt(1)
	v_lshrrev_b32_e32 v152, 16, v77
	v_mul_lo_u16 v30, 0x7d, v30
	v_sub_nc_u16 v66, v72, v30
	s_waitcnt lgkmcnt(0)
	v_lshrrev_b32_e32 v79, 16, v37
	v_lshlrev_b32_e32 v72, 4, v72
	s_waitcnt vmcnt(2)
	v_mul_f16_sdwa v71, v29, v4 dst_sel:DWORD dst_unused:UNUSED_PAD src0_sel:DWORD src1_sel:WORD_1
	v_mul_f16_sdwa v30, v52, v4 dst_sel:DWORD dst_unused:UNUSED_PAD src0_sel:DWORD src1_sel:WORD_1
	;; [unrolled: 1-line block ×5, first 2 shown]
	v_fmac_f16_e32 v71, v52, v4
	v_lshlrev_b16 v52, 4, v66
	v_fmac_f16_e32 v75, v53, v5
	v_mul_f16_sdwa v137, v37, v6 dst_sel:DWORD dst_unused:UNUSED_PAD src0_sel:DWORD src1_sel:WORD_1
	v_fma_f16 v69, v69, v5, -v54
	v_fma_f16 v37, v37, v6, -v55
	v_and_b32_e32 v52, 0xffff, v52
	v_mul_f16_sdwa v141, v80, v7 dst_sel:DWORD dst_unused:UNUSED_PAD src0_sel:DWORD src1_sel:WORD_1
	v_mul_f16_sdwa v151, v73, v7 dst_sel:DWORD dst_unused:UNUSED_PAD src0_sel:DWORD src1_sel:WORD_1
	v_fmac_f16_e32 v137, v79, v6
	v_fma_f16 v147, v29, v4, -v30
	v_add_co_u32 v52, s0, s2, v52
	v_add_co_ci_u32_e64 v53, null, s3, 0, s0
	v_fma_f16 v73, v73, v7, -v141
	v_fmac_f16_e32 v151, v80, v7
	v_add_f16_e32 v141, v69, v37
	global_load_dwordx4 v[52:55], v[52:53], off offset:480
	v_add_f16_e32 v143, v75, v137
	v_sub_f16_e32 v29, v147, v69
	v_sub_f16_e32 v30, v73, v37
	v_add_f16_e32 v79, v77, v147
	v_add_f16_e32 v144, v152, v71
	v_fma_f16 v154, -0.5, v141, v77
	v_sub_f16_e32 v155, v71, v151
	v_fma_f16 v156, -0.5, v143, v152
	v_sub_f16_e32 v157, v147, v73
	v_add_f16_e32 v153, v29, v30
	v_add_f16_e32 v29, v79, v69
	v_sub_f16_e32 v80, v71, v75
	v_sub_f16_e32 v142, v151, v137
	v_add_f16_e32 v30, v144, v75
	v_fmamk_f16 v79, v155, 0x3b9c, v154
	v_sub_f16_e32 v158, v75, v137
	v_fmamk_f16 v141, v157, 0xbb9c, v156
	v_sub_f16_e32 v159, v69, v37
	v_add_f16_e32 v29, v29, v37
	v_add_f16_e32 v160, v80, v142
	;; [unrolled: 1-line block ×3, first 2 shown]
	v_fmac_f16_e32 v79, 0x38b4, v158
	v_fmac_f16_e32 v141, 0xb8b4, v159
	v_add_f16_e32 v29, v29, v73
	v_add_f16_e32 v148, v147, v73
	v_sub_f16_e32 v37, v37, v73
	v_add_f16_e32 v73, v71, v151
	v_add_f16_e32 v30, v30, v151
	v_fmac_f16_e32 v79, 0x34f2, v153
	v_fmac_f16_e32 v141, 0x34f2, v160
	v_sub_f16_e32 v69, v69, v147
	v_fma_f16 v77, -0.5, v148, v77
	v_fmac_f16_e32 v152, -0.5, v73
	v_pack_b32_f16 v161, v29, v30
	v_pack_b32_f16 v162, v79, v141
	ds_read_b32 v163, v81 offset:12000
	ds_read2_b32 v[79:80], v112 offset0:110 offset1:235
	ds_read2_b32 v[141:142], v108 offset0:80 offset1:205
	;; [unrolled: 1-line block ×4, first 2 shown]
	v_add_f16_e32 v37, v69, v37
	v_fmamk_f16 v69, v158, 0xbb9c, v77
	v_sub_f16_e32 v71, v75, v71
	v_fmac_f16_e32 v77, 0x3b9c, v158
	v_sub_f16_e32 v73, v137, v151
	v_fmamk_f16 v75, v159, 0x3b9c, v152
	v_fmac_f16_e32 v152, 0xbb9c, v159
	v_fmac_f16_e32 v69, 0x38b4, v155
	;; [unrolled: 1-line block ×3, first 2 shown]
	v_add_f16_e32 v71, v71, v73
	v_fmac_f16_e32 v75, 0xb8b4, v157
	v_fmac_f16_e32 v152, 0x38b4, v157
	v_fmac_f16_e32 v69, 0x34f2, v37
	v_fmac_f16_e32 v77, 0x34f2, v37
	v_lshrrev_b32_e32 v37, 16, v70
	v_fmac_f16_e32 v75, 0x34f2, v71
	v_fmac_f16_e32 v152, 0x34f2, v71
	s_waitcnt lgkmcnt(3)
	v_mul_f16_sdwa v151, v79, v4 dst_sel:DWORD dst_unused:UNUSED_PAD src0_sel:DWORD src1_sel:WORD_1
	v_fmac_f16_e32 v154, 0xbb9c, v155
	v_mul_f16_sdwa v71, v37, v5 dst_sel:DWORD dst_unused:UNUSED_PAD src0_sel:DWORD src1_sel:WORD_1
	v_pack_b32_f16 v69, v69, v75
	v_pack_b32_f16 v73, v77, v152
	v_lshrrev_b32_e32 v77, 16, v79
	v_lshrrev_b32_e32 v75, 16, v74
	v_fma_f16 v71, v70, v5, -v71
	v_mul_f16_sdwa v70, v70, v5 dst_sel:DWORD dst_unused:UNUSED_PAD src0_sel:DWORD src1_sel:WORD_1
	v_fmac_f16_e32 v156, 0x3b9c, v157
	v_mul_f16_sdwa v152, v77, v4 dst_sel:DWORD dst_unused:UNUSED_PAD src0_sel:DWORD src1_sel:WORD_1
	v_fmac_f16_e32 v151, v77, v4
	s_waitcnt lgkmcnt(2)
	v_lshrrev_b32_e32 v77, 16, v141
	v_mul_f16_sdwa v137, v75, v7 dst_sel:DWORD dst_unused:UNUSED_PAD src0_sel:DWORD src1_sel:WORD_1
	v_fmac_f16_e32 v154, 0xb8b4, v158
	v_fma_f16 v79, v79, v4, -v152
	v_lshrrev_b32_e32 v152, 16, v78
	v_fmac_f16_e32 v70, v37, v5
	v_mul_f16_sdwa v37, v141, v6 dst_sel:DWORD dst_unused:UNUSED_PAD src0_sel:DWORD src1_sel:WORD_1
	v_mul_f16_sdwa v155, v77, v6 dst_sel:DWORD dst_unused:UNUSED_PAD src0_sel:DWORD src1_sel:WORD_1
	v_add_f16_e32 v157, v78, v79
	v_add_f16_e32 v158, v152, v151
	v_fmac_f16_e32 v156, 0x38b4, v159
	v_fma_f16 v137, v74, v7, -v137
	v_mul_f16_sdwa v74, v74, v7 dst_sel:DWORD dst_unused:UNUSED_PAD src0_sel:DWORD src1_sel:WORD_1
	v_fmac_f16_e32 v37, v77, v6
	v_fma_f16 v77, v141, v6, -v155
	v_add_f16_e32 v141, v157, v71
	v_add_f16_e32 v155, v158, v70
	v_fmac_f16_e32 v154, 0x34f2, v153
	v_fmac_f16_e32 v156, 0x34f2, v160
	;; [unrolled: 1-line block ×3, first 2 shown]
	v_add_f16_e32 v75, v141, v77
	v_add_f16_e32 v141, v155, v37
	ds_read2_b32 v[145:146], v99 offset0:62 offset1:187
	ds_read2_b32 v[147:148], v95 offset0:104 offset1:229
	;; [unrolled: 1-line block ×3, first 2 shown]
	s_waitcnt vmcnt(0) lgkmcnt(0)
	s_barrier
	buffer_gl0_inv
	ds_write2_b32 v81, v161, v162 offset1:125
	ds_write2_b32 v104, v69, v73 offset0:122 offset1:247
	v_pack_b32_f16 v69, v154, v156
	v_add_f16_e32 v73, v75, v137
	v_add_f16_e32 v75, v141, v74
	v_sub_f16_e32 v141, v79, v71
	v_sub_f16_e32 v153, v137, v77
	v_add_f16_e32 v154, v71, v77
	v_add_f16_e32 v155, v79, v137
	v_sub_f16_e32 v156, v71, v79
	v_sub_f16_e32 v157, v77, v137
	v_pack_b32_f16 v73, v73, v75
	v_add_f16_e32 v75, v141, v153
	v_fma_f16 v141, -0.5, v154, v78
	v_add_f16_e32 v154, v70, v37
	v_fmac_f16_e32 v78, -0.5, v155
	v_add_f16_e32 v153, v156, v157
	v_sub_f16_e32 v79, v79, v137
	v_sub_f16_e32 v137, v70, v37
	;; [unrolled: 1-line block ×5, first 2 shown]
	v_add_f16_e32 v151, v151, v74
	v_fma_f16 v154, -0.5, v154, v152
	v_sub_f16_e32 v157, v74, v37
	v_sub_f16_e32 v37, v37, v74
	;; [unrolled: 1-line block ×3, first 2 shown]
	v_fmamk_f16 v74, v156, 0x3b9c, v141
	v_fmac_f16_e32 v152, -0.5, v151
	v_fmamk_f16 v77, v79, 0xbb9c, v154
	v_fmamk_f16 v151, v137, 0xbb9c, v78
	v_add_f16_e32 v155, v155, v157
	v_fmac_f16_e32 v74, 0x38b4, v137
	v_fmamk_f16 v157, v71, 0x3b9c, v152
	v_fmac_f16_e32 v77, 0xb8b4, v71
	v_fmac_f16_e32 v151, 0x38b4, v156
	v_add_f16_e32 v37, v70, v37
	v_fmac_f16_e32 v74, 0x34f2, v75
	v_fmac_f16_e32 v157, 0xb8b4, v79
	;; [unrolled: 1-line block ×7, first 2 shown]
	ds_write2_b32 v118, v69, v73 offset0:116 offset1:241
	v_pack_b32_f16 v69, v74, v77
	v_fmac_f16_e32 v152, 0x38b4, v79
	v_fmac_f16_e32 v141, 0xbb9c, v156
	v_lshrrev_b32_e32 v73, 16, v80
	v_fmac_f16_e32 v154, 0x3b9c, v79
	v_lshrrev_b32_e32 v74, 16, v142
	v_lshrrev_b32_e32 v77, 16, v143
	;; [unrolled: 1-line block ×3, first 2 shown]
	v_fmac_f16_e32 v78, 0xb8b4, v156
	v_pack_b32_f16 v70, v151, v157
	v_fmac_f16_e32 v152, 0x34f2, v37
	v_fmac_f16_e32 v141, 0xb8b4, v137
	v_mul_f16_sdwa v37, v73, v60 dst_sel:DWORD dst_unused:UNUSED_PAD src0_sel:DWORD src1_sel:WORD_1
	v_fmac_f16_e32 v154, 0x38b4, v71
	v_mul_f16_sdwa v71, v74, v62 dst_sel:DWORD dst_unused:UNUSED_PAD src0_sel:DWORD src1_sel:WORD_1
	v_mul_f16_sdwa v137, v77, v61 dst_sel:DWORD dst_unused:UNUSED_PAD src0_sel:DWORD src1_sel:WORD_1
	;; [unrolled: 1-line block ×3, first 2 shown]
	v_fmac_f16_e32 v78, 0x34f2, v153
	v_fma_f16 v37, v80, v60, -v37
	v_mul_f16_sdwa v80, v80, v60 dst_sel:DWORD dst_unused:UNUSED_PAD src0_sel:DWORD src1_sel:WORD_1
	v_mul_f16_sdwa v153, v142, v62 dst_sel:DWORD dst_unused:UNUSED_PAD src0_sel:DWORD src1_sel:WORD_1
	v_fma_f16 v71, v142, v62, -v71
	v_fma_f16 v142, v143, v61, -v137
	v_fma_f16 v151, v145, v63, -v151
	v_mul_f16_sdwa v156, v143, v61 dst_sel:DWORD dst_unused:UNUSED_PAD src0_sel:DWORD src1_sel:WORD_1
	v_fmac_f16_e32 v80, v73, v60
	v_mul_f16_sdwa v73, v145, v63 dst_sel:DWORD dst_unused:UNUSED_PAD src0_sel:DWORD src1_sel:WORD_1
	v_sub_f16_e32 v137, v37, v142
	v_sub_f16_e32 v143, v151, v71
	v_fmac_f16_e32 v156, v77, v61
	v_fmac_f16_e32 v153, v74, v62
	;; [unrolled: 1-line block ×3, first 2 shown]
	v_lshrrev_b32_e32 v77, 16, v29
	v_add_f16_e32 v74, v137, v143
	v_add_f16_e32 v145, v29, v37
	;; [unrolled: 1-line block ×3, first 2 shown]
	v_fmac_f16_e32 v141, 0x34f2, v75
	v_sub_f16_e32 v75, v80, v156
	v_add_f16_e32 v79, v142, v71
	v_sub_f16_e32 v137, v73, v153
	v_add_f16_e32 v157, v77, v80
	v_fma_f16 v159, -0.5, v143, v77
	v_add_f16_e32 v143, v145, v142
	v_fma_f16 v79, -0.5, v79, v29
	v_sub_f16_e32 v158, v80, v73
	v_sub_f16_e32 v160, v37, v151
	v_add_f16_e32 v145, v157, v156
	v_add_f16_e32 v75, v75, v137
	;; [unrolled: 1-line block ×3, first 2 shown]
	v_fmac_f16_e32 v154, 0x34f2, v155
	v_fmamk_f16 v157, v158, 0x3b9c, v79
	v_sub_f16_e32 v161, v156, v153
	v_fmamk_f16 v162, v160, 0xbb9c, v159
	v_sub_f16_e32 v164, v142, v71
	v_add_f16_e32 v143, v145, v153
	v_add_f16_e32 v145, v137, v151
	v_lshlrev_b32_sdwa v137, v31, v65 dst_sel:DWORD dst_unused:UNUSED_PAD src0_sel:DWORD src1_sel:WORD_0
	v_pack_b32_f16 v65, v78, v152
	v_add_f16_e32 v152, v37, v151
	v_pack_b32_f16 v78, v141, v154
	v_fmac_f16_e32 v157, 0x38b4, v161
	v_fmac_f16_e32 v162, 0xb8b4, v164
	ds_write2_b32 v112, v69, v70 offset0:110 offset1:235
	ds_write2_b32 v95, v65, v78 offset0:104 offset1:229
	v_add_f16_e32 v65, v80, v73
	v_fma_f16 v29, -0.5, v152, v29
	v_add_f16_e32 v143, v143, v73
	v_fmac_f16_e32 v157, 0x34f2, v74
	v_fmac_f16_e32 v162, 0x34f2, v75
	v_sub_f16_e32 v37, v142, v37
	v_sub_f16_e32 v69, v71, v151
	v_fmac_f16_e32 v77, -0.5, v65
	v_sub_f16_e32 v65, v156, v80
	v_fmamk_f16 v70, v161, 0xbb9c, v29
	v_fmac_f16_e32 v29, 0x3b9c, v161
	v_sub_f16_e32 v71, v153, v73
	v_pack_b32_f16 v141, v145, v143
	v_pack_b32_f16 v145, v157, v162
	v_add_nc_u32_e32 v143, 0x1200, v137
	v_add_f16_e32 v37, v37, v69
	v_fmamk_f16 v69, v164, 0x3b9c, v77
	v_fmac_f16_e32 v70, 0x38b4, v158
	v_fmac_f16_e32 v29, 0xb8b4, v158
	v_add_f16_e32 v65, v65, v71
	v_fmac_f16_e32 v77, 0xbb9c, v164
	v_lshrrev_b32_e32 v71, 16, v144
	v_lshrrev_b32_e32 v78, 16, v147
	ds_write2_b32 v143, v141, v145 offset0:98 offset1:223
	v_fmac_f16_e32 v69, 0xb8b4, v160
	v_fmac_f16_e32 v70, 0x34f2, v37
	;; [unrolled: 1-line block ×4, first 2 shown]
	v_lshrrev_b32_e32 v37, 16, v146
	v_mul_f16_sdwa v73, v71, v57 dst_sel:DWORD dst_unused:UNUSED_PAD src0_sel:DWORD src1_sel:WORD_1
	v_lshrrev_b32_e32 v80, 16, v149
	v_mul_f16_sdwa v141, v78, v56 dst_sel:DWORD dst_unused:UNUSED_PAD src0_sel:DWORD src1_sel:WORD_1
	v_fmac_f16_e32 v69, 0x34f2, v65
	v_fmac_f16_e32 v77, 0x34f2, v65
	v_mul_f16_sdwa v65, v37, v59 dst_sel:DWORD dst_unused:UNUSED_PAD src0_sel:DWORD src1_sel:WORD_1
	v_fma_f16 v73, v144, v57, -v73
	v_mul_f16_sdwa v142, v80, v58 dst_sel:DWORD dst_unused:UNUSED_PAD src0_sel:DWORD src1_sel:WORD_1
	v_mul_f16_sdwa v144, v144, v57 dst_sel:DWORD dst_unused:UNUSED_PAD src0_sel:DWORD src1_sel:WORD_1
	v_fma_f16 v141, v147, v56, -v141
	v_mul_f16_sdwa v147, v147, v56 dst_sel:DWORD dst_unused:UNUSED_PAD src0_sel:DWORD src1_sel:WORD_1
	v_fma_f16 v65, v146, v59, -v65
	;; [unrolled: 2-line block ×3, first 2 shown]
	v_fmac_f16_e32 v144, v71, v57
	v_mul_f16_sdwa v71, v149, v58 dst_sel:DWORD dst_unused:UNUSED_PAD src0_sel:DWORD src1_sel:WORD_1
	v_fmac_f16_e32 v147, v78, v56
	v_lshrrev_b32_e32 v78, 16, v30
	v_sub_f16_e32 v146, v141, v73
	v_sub_f16_e32 v149, v65, v142
	v_fmac_f16_e32 v145, v37, v59
	v_fmac_f16_e32 v71, v80, v58
	v_add_f16_e32 v151, v30, v141
	v_add_f16_e32 v152, v78, v147
	v_pack_b32_f16 v69, v70, v69
	v_add_f16_e32 v37, v146, v149
	v_sub_f16_e32 v70, v147, v144
	v_sub_f16_e32 v146, v145, v71
	v_add_f16_e32 v151, v151, v73
	v_add_f16_e32 v152, v152, v144
	;; [unrolled: 1-line block ×8, first 2 shown]
	v_fma_f16 v80, -0.5, v80, v30
	v_sub_f16_e32 v153, v147, v145
	v_fma_f16 v149, -0.5, v149, v78
	v_sub_f16_e32 v154, v141, v65
	v_sub_f16_e32 v156, v144, v71
	v_fmac_f16_e32 v30, -0.5, v152
	v_fmamk_f16 v155, v153, 0x3b9c, v80
	v_sub_f16_e32 v162, v73, v142
	v_fmamk_f16 v157, v154, 0xbb9c, v149
	v_pack_b32_f16 v29, v29, v77
	v_add_f16_e32 v77, v146, v65
	v_sub_f16_e32 v73, v73, v141
	v_sub_f16_e32 v65, v142, v65
	;; [unrolled: 1-line block ×3, first 2 shown]
	v_fmamk_f16 v144, v156, 0xbb9c, v30
	v_fmac_f16_e32 v30, 0x3b9c, v156
	v_sub_f16_e32 v71, v71, v145
	v_fmac_f16_e32 v155, 0x38b4, v156
	v_fmac_f16_e32 v157, 0xb8b4, v162
	v_add_f16_e32 v151, v151, v145
	v_add_f16_e32 v65, v73, v65
	v_fmac_f16_e32 v30, 0xb8b4, v153
	v_fmac_f16_e32 v144, 0x38b4, v153
	v_lshlrev_b32_sdwa v141, v31, v67 dst_sel:DWORD dst_unused:UNUSED_PAD src0_sel:DWORD src1_sel:WORD_0
	v_add_f16_e32 v67, v142, v71
	v_lshrrev_b32_e32 v71, 16, v148
	v_fmac_f16_e32 v155, 0x34f2, v37
	v_fmac_f16_e32 v157, 0x34f2, v70
	v_pack_b32_f16 v77, v77, v151
	v_add_f16_e32 v151, v147, v145
	v_fmac_f16_e32 v30, 0x34f2, v65
	v_lshrrev_b32_e32 v73, 16, v36
	v_fmac_f16_e32 v144, 0x34f2, v65
	v_lshrrev_b32_e32 v65, 16, v150
	v_pack_b32_f16 v155, v155, v157
	v_fmac_f16_e32 v78, -0.5, v151
	v_lshrrev_b32_e32 v152, 16, v163
	v_add_nc_u32_e32 v146, 0x1600, v137
	v_add_nc_u32_e32 v142, 0x1c00, v141
	v_fmac_f16_e32 v79, 0xbb9c, v158
	v_fmamk_f16 v145, v162, 0x3b9c, v78
	v_fmac_f16_e32 v78, 0xbb9c, v162
	v_fmac_f16_e32 v159, 0x3b9c, v160
	;; [unrolled: 1-line block ×13, first 2 shown]
	v_mul_f16_sdwa v147, v71, v52 dst_sel:DWORD dst_unused:UNUSED_PAD src0_sel:DWORD src1_sel:WORD_1
	v_mul_f16_sdwa v151, v73, v53 dst_sel:DWORD dst_unused:UNUSED_PAD src0_sel:DWORD src1_sel:WORD_1
	;; [unrolled: 1-line block ×4, first 2 shown]
	v_pack_b32_f16 v30, v30, v78
	v_fma_f16 v147, v148, v52, -v147
	v_mul_f16_sdwa v148, v148, v52 dst_sel:DWORD dst_unused:UNUSED_PAD src0_sel:DWORD src1_sel:WORD_1
	v_fma_f16 v151, v36, v53, -v151
	v_mul_f16_sdwa v36, v36, v53 dst_sel:DWORD dst_unused:UNUSED_PAD src0_sel:DWORD src1_sel:WORD_1
	;; [unrolled: 2-line block ×3, first 2 shown]
	v_fmac_f16_e32 v148, v71, v52
	v_mul_f16_sdwa v71, v163, v55 dst_sel:DWORD dst_unused:UNUSED_PAD src0_sel:DWORD src1_sel:WORD_1
	v_fma_f16 v163, v163, v55, -v165
	v_fmac_f16_e32 v36, v73, v53
	v_fmac_f16_e32 v150, v65, v54
	v_add_f16_e32 v65, v151, v157
	v_fmac_f16_e32 v71, v152, v55
	v_add_f16_e32 v73, v147, v163
	v_lshrrev_b32_e32 v152, 16, v28
	v_add_f16_e32 v165, v36, v150
	v_fma_f16 v65, -0.5, v65, v28
	v_add_f16_e32 v166, v148, v71
	v_add_f16_e32 v167, v28, v147
	v_fmac_f16_e32 v28, -0.5, v73
	v_fma_f16 v73, -0.5, v165, v152
	v_add_f16_e32 v165, v152, v148
	v_sub_f16_e32 v175, v148, v71
	v_sub_f16_e32 v176, v147, v163
	v_fmac_f16_e32 v152, -0.5, v166
	v_sub_f16_e32 v168, v36, v150
	v_sub_f16_e32 v170, v151, v157
	v_pack_b32_f16 v78, v144, v145
	v_add_nc_u32_e32 v144, 0x2000, v141
	v_sub_f16_e32 v166, v151, v147
	v_sub_f16_e32 v171, v36, v148
	v_add_f16_e32 v145, v167, v151
	ds_write2_b32 v146, v69, v29 offset0:92 offset1:217
	ds_write2_b32 v142, v77, v155 offset0:83 offset1:208
	;; [unrolled: 1-line block ×3, first 2 shown]
	v_sub_f16_e32 v30, v147, v151
	v_sub_f16_e32 v69, v148, v36
	v_add_f16_e32 v36, v165, v36
	v_sub_f16_e32 v77, v163, v157
	v_sub_f16_e32 v78, v71, v150
	v_fmamk_f16 v147, v175, 0x3b9c, v65
	v_fmamk_f16 v148, v176, 0xbb9c, v73
	v_sub_f16_e32 v169, v157, v163
	v_sub_f16_e32 v172, v150, v71
	v_fmamk_f16 v173, v168, 0xbb9c, v28
	v_fmac_f16_e32 v28, 0x3b9c, v168
	v_fmamk_f16 v174, v170, 0x3b9c, v152
	v_fmac_f16_e32 v152, 0xbb9c, v170
	v_fmac_f16_e32 v65, 0xbb9c, v175
	;; [unrolled: 1-line block ×3, first 2 shown]
	v_add_f16_e32 v29, v145, v157
	v_add_f16_e32 v36, v36, v150
	;; [unrolled: 1-line block ×4, first 2 shown]
	v_fmac_f16_e32 v147, 0x38b4, v168
	v_fmac_f16_e32 v148, 0xb8b4, v170
	v_add_f16_e32 v67, v166, v169
	v_add_f16_e32 v166, v171, v172
	v_fmac_f16_e32 v28, 0xb8b4, v175
	v_fmac_f16_e32 v152, 0x38b4, v176
	;; [unrolled: 1-line block ×6, first 2 shown]
	v_add_f16_e32 v29, v29, v163
	v_add_f16_e32 v36, v36, v71
	v_lshlrev_b32_sdwa v145, v31, v66 dst_sel:DWORD dst_unused:UNUSED_PAD src0_sel:DWORD src1_sel:WORD_0
	v_fmac_f16_e32 v147, 0x34f2, v30
	v_fmac_f16_e32 v148, 0x34f2, v69
	;; [unrolled: 1-line block ×11, first 2 shown]
	v_pack_b32_f16 v29, v29, v36
	v_pack_b32_f16 v31, v147, v148
	v_add_nc_u32_e32 v147, 0x2600, v145
	v_pack_b32_f16 v28, v28, v152
	v_pack_b32_f16 v30, v173, v174
	v_add_nc_u32_e32 v148, 0x2a00, v145
	v_pack_b32_f16 v36, v79, v159
	v_pack_b32_f16 v37, v80, v149
	;; [unrolled: 1-line block ×3, first 2 shown]
	ds_write2_b32 v147, v29, v31 offset0:68 offset1:193
	ds_write2_b32 v148, v30, v28 offset0:62 offset1:187
	ds_write_b32 v137, v36 offset:7000
	ds_write_b32 v141, v37 offset:9500
	;; [unrolled: 1-line block ×3, first 2 shown]
	v_lshlrev_b32_e32 v28, 4, v38
	v_add_co_u32 v29, s0, s2, v39
	v_add_co_ci_u32_e64 v30, null, s3, 0, s0
	v_add_co_u32 v31, s0, s2, v28
	v_add_co_ci_u32_e64 v37, null, s3, 0, s0
	v_add_co_u32 v28, vcc_lo, 0x800, v29
	v_add_co_ci_u32_e32 v29, vcc_lo, 0, v30, vcc_lo
	v_add_co_u32 v36, vcc_lo, 0x800, v31
	v_add_co_ci_u32_e32 v37, vcc_lo, 0, v37, vcc_lo
	s_waitcnt lgkmcnt(0)
	s_barrier
	buffer_gl0_inv
	s_clause 0x1
	global_load_dwordx4 v[28:31], v[28:29], off offset:432
	global_load_dwordx4 v[36:39], v[36:37], off offset:432
	v_add_co_u32 v64, s0, s2, v64
	v_add_co_ci_u32_e64 v65, null, s3, 0, s0
	v_add_co_u32 v68, s0, s2, v68
	v_add_co_u32 v64, vcc_lo, 0x800, v64
	v_add_co_ci_u32_e32 v65, vcc_lo, 0, v65, vcc_lo
	v_add_co_u32 v68, vcc_lo, 0x800, v68
	global_load_dwordx4 v[64:67], v[64:65], off offset:432
	ds_read2_b32 v[69:70], v117 offset0:98 offset1:223
	ds_read2_b32 v[79:80], v116 offset0:86 offset1:211
	;; [unrolled: 1-line block ×4, first 2 shown]
	s_waitcnt lgkmcnt(3)
	v_lshrrev_b32_e32 v71, 16, v69
	v_lshrrev_b32_e32 v75, 16, v70
	s_waitcnt lgkmcnt(2)
	v_lshrrev_b32_e32 v152, 16, v80
	s_waitcnt lgkmcnt(1)
	v_lshrrev_b32_e32 v154, 16, v74
	s_waitcnt vmcnt(2)
	v_mul_f16_sdwa v149, v71, v29 dst_sel:DWORD dst_unused:UNUSED_PAD src0_sel:DWORD src1_sel:WORD_1
	s_waitcnt vmcnt(1)
	v_mul_f16_sdwa v150, v75, v37 dst_sel:DWORD dst_unused:UNUSED_PAD src0_sel:DWORD src1_sel:WORD_1
	v_mul_f16_sdwa v164, v70, v37 dst_sel:DWORD dst_unused:UNUSED_PAD src0_sel:DWORD src1_sel:WORD_1
	v_mul_f16_sdwa v153, v73, v31 dst_sel:DWORD dst_unused:UNUSED_PAD src0_sel:DWORD src1_sel:WORD_1
	s_waitcnt lgkmcnt(0)
	v_mul_f16_sdwa v155, v78, v28 dst_sel:DWORD dst_unused:UNUSED_PAD src0_sel:DWORD src1_sel:WORD_1
	v_fma_f16 v151, v69, v29, -v149
	v_mul_f16_sdwa v69, v69, v29 dst_sel:DWORD dst_unused:UNUSED_PAD src0_sel:DWORD src1_sel:WORD_1
	v_fma_f16 v163, v70, v37, -v150
	ds_read2_b32 v[149:150], v81 offset1:125
	v_lshrrev_b32_e32 v70, 16, v73
	v_fmac_f16_e32 v164, v75, v37
	v_fmac_f16_e32 v69, v71, v29
	v_mul_f16_sdwa v71, v152, v30 dst_sel:DWORD dst_unused:UNUSED_PAD src0_sel:DWORD src1_sel:WORD_1
	v_lshrrev_b32_e32 v75, 16, v78
	v_fmac_f16_e32 v153, v70, v31
	v_mul_f16_sdwa v70, v70, v31 dst_sel:DWORD dst_unused:UNUSED_PAD src0_sel:DWORD src1_sel:WORD_1
	v_mul_f16_sdwa v156, v154, v39 dst_sel:DWORD dst_unused:UNUSED_PAD src0_sel:DWORD src1_sel:WORD_1
	v_fma_f16 v71, v80, v30, -v71
	v_mul_f16_sdwa v157, v75, v28 dst_sel:DWORD dst_unused:UNUSED_PAD src0_sel:DWORD src1_sel:WORD_1
	v_fmac_f16_e32 v155, v75, v28
	v_fma_f16 v70, v73, v31, -v70
	v_mul_f16_sdwa v75, v80, v30 dst_sel:DWORD dst_unused:UNUSED_PAD src0_sel:DWORD src1_sel:WORD_1
	v_add_f16_e32 v158, v151, v71
	v_fma_f16 v78, v78, v28, -v157
	v_fma_f16 v165, v74, v39, -v156
	v_sub_f16_e32 v156, v70, v71
	v_fmac_f16_e32 v75, v152, v30
	v_sub_f16_e32 v73, v155, v153
	s_waitcnt lgkmcnt(0)
	v_fma_f16 v80, -0.5, v158, v149
	v_sub_f16_e32 v152, v78, v151
	v_add_f16_e32 v158, v78, v70
	v_sub_f16_e32 v159, v69, v75
	v_mul_f16_sdwa v166, v74, v39 dst_sel:DWORD dst_unused:UNUSED_PAD src0_sel:DWORD src1_sel:WORD_1
	v_fmamk_f16 v157, v73, 0x3b9c, v80
	v_add_f16_e32 v74, v152, v156
	v_fma_f16 v156, -0.5, v158, v149
	v_add_f16_e32 v158, v149, v78
	v_fmac_f16_e32 v80, 0xbb9c, v73
	v_fmac_f16_e32 v157, 0x38b4, v159
	v_sub_f16_e32 v152, v151, v78
	v_fmamk_f16 v161, v159, 0xbb9c, v156
	v_fmac_f16_e32 v156, 0x3b9c, v159
	v_add_f16_e32 v158, v158, v151
	v_sub_f16_e32 v160, v71, v70
	v_fmac_f16_e32 v80, 0xb8b4, v159
	v_fmac_f16_e32 v161, 0x38b4, v73
	;; [unrolled: 1-line block ×3, first 2 shown]
	v_add_f16_e32 v73, v158, v71
	v_add_f16_e32 v152, v152, v160
	v_fmac_f16_e32 v166, v154, v39
	v_fmac_f16_e32 v157, 0x34f2, v74
	;; [unrolled: 1-line block ×3, first 2 shown]
	v_add_f16_e32 v154, v73, v70
	ds_read2_b32 v[73:74], v112 offset0:110 offset1:235
	v_fmac_f16_e32 v161, 0x34f2, v152
	v_fmac_f16_e32 v156, 0x34f2, v152
	v_lshrrev_b32_e32 v149, 16, v149
	v_sub_f16_e32 v71, v151, v71
	v_add_f16_e32 v151, v69, v75
	v_add_f16_e32 v152, v155, v153
	v_sub_f16_e32 v159, v155, v69
	v_add_f16_e32 v158, v149, v155
	v_sub_f16_e32 v160, v153, v75
	v_fma_f16 v162, -0.5, v151, v149
	v_fmac_f16_e32 v149, -0.5, v152
	ds_read2_b32 v[151:152], v108 offset0:80 offset1:205
	v_add_f16_e32 v158, v158, v69
	v_sub_f16_e32 v69, v69, v155
	v_sub_f16_e32 v155, v75, v153
	v_sub_f16_e32 v70, v78, v70
	v_add_f16_e32 v78, v159, v160
	v_add_f16_e32 v75, v158, v75
	v_fmamk_f16 v158, v71, 0x3b9c, v149
	v_fmac_f16_e32 v149, 0xbb9c, v71
	s_waitcnt lgkmcnt(1)
	v_lshrrev_b32_e32 v159, 16, v73
	v_add_f16_e32 v69, v69, v155
	v_fmamk_f16 v155, v70, 0xbb9c, v162
	v_fmac_f16_e32 v162, 0x3b9c, v70
	v_fmac_f16_e32 v158, 0xb8b4, v70
	v_fmac_f16_e32 v149, 0x38b4, v70
	v_mul_f16_sdwa v167, v73, v36 dst_sel:DWORD dst_unused:UNUSED_PAD src0_sel:DWORD src1_sel:WORD_1
	v_mul_f16_sdwa v70, v159, v36 dst_sel:DWORD dst_unused:UNUSED_PAD src0_sel:DWORD src1_sel:WORD_1
	v_lshrrev_b32_e32 v168, 16, v150
	v_fmac_f16_e32 v158, 0x34f2, v69
	v_fmac_f16_e32 v149, 0x34f2, v69
	;; [unrolled: 1-line block ×3, first 2 shown]
	s_waitcnt lgkmcnt(0)
	v_lshrrev_b32_e32 v69, 16, v151
	v_fma_f16 v73, v73, v36, -v70
	v_fmac_f16_e32 v155, 0xb8b4, v71
	v_fmac_f16_e32 v162, 0x38b4, v71
	v_mul_f16_sdwa v169, v151, v38 dst_sel:DWORD dst_unused:UNUSED_PAD src0_sel:DWORD src1_sel:WORD_1
	v_mul_f16_sdwa v70, v69, v38 dst_sel:DWORD dst_unused:UNUSED_PAD src0_sel:DWORD src1_sel:WORD_1
	v_add_f16_e32 v71, v150, v73
	v_add_f16_e32 v159, v168, v167
	v_fmac_f16_e32 v155, 0x34f2, v78
	v_fmac_f16_e32 v162, 0x34f2, v78
	;; [unrolled: 1-line block ×3, first 2 shown]
	v_fma_f16 v78, v151, v38, -v70
	v_add_f16_e32 v69, v71, v163
	v_add_f16_e32 v70, v159, v164
	;; [unrolled: 1-line block ×3, first 2 shown]
	v_pack_b32_f16 v75, v157, v155
	v_pack_b32_f16 v151, v161, v158
	v_add_f16_e32 v69, v69, v78
	v_add_f16_e32 v70, v70, v169
	v_pack_b32_f16 v149, v156, v149
	v_pack_b32_f16 v80, v80, v162
	ds_write_b32 v81, v75 offset:2500
	ds_write_b32 v81, v151 offset:5000
	;; [unrolled: 1-line block ×4, first 2 shown]
	v_add_f16_e32 v69, v69, v165
	v_add_f16_e32 v70, v70, v166
	v_pack_b32_f16 v170, v154, v71
	ds_read_b32 v80, v81 offset:12000
	ds_read2_b32 v[153:154], v104 offset0:122 offset1:247
	ds_read2_b32 v[155:156], v102 offset0:92 offset1:217
	;; [unrolled: 1-line block ×3, first 2 shown]
	v_sub_f16_e32 v151, v164, v169
	v_pack_b32_f16 v75, v69, v70
	v_add_f16_e32 v69, v163, v78
	v_add_f16_e32 v70, v73, v165
	v_sub_f16_e32 v172, v164, v167
	v_sub_f16_e32 v173, v169, v166
	;; [unrolled: 1-line block ×3, first 2 shown]
	v_fma_f16 v149, -0.5, v69, v150
	v_add_f16_e32 v69, v164, v169
	v_fmac_f16_e32 v150, -0.5, v70
	v_lshrrev_b32_e32 v180, 16, v152
	ds_read2_b32 v[159:160], v95 offset0:104 offset1:229
	ds_read2_b32 v[161:162], v92 offset0:74 offset1:199
	v_sub_f16_e32 v70, v163, v73
	v_fma_f16 v171, -0.5, v69, v168
	v_add_f16_e32 v69, v167, v166
	v_sub_f16_e32 v71, v78, v165
	v_fmamk_f16 v174, v151, 0xbb9c, v150
	v_fmac_f16_e32 v150, 0x3b9c, v151
	v_sub_f16_e32 v175, v167, v166
	v_fmac_f16_e32 v168, -0.5, v69
	v_add_f16_e32 v172, v172, v173
	v_sub_f16_e32 v178, v73, v165
	ds_write2_b32 v81, v170, v75 offset1:125
	s_waitcnt vmcnt(0)
	v_mul_f16_sdwa v75, v180, v66 dst_sel:DWORD dst_unused:UNUSED_PAD src0_sel:DWORD src1_sel:WORD_1
	v_fmamk_f16 v173, v176, 0x3b9c, v168
	v_fmac_f16_e32 v168, 0xbb9c, v176
	v_add_f16_e32 v177, v70, v71
	v_fmac_f16_e32 v150, 0xb8b4, v175
	v_lshrrev_b32_e32 v179, 16, v74
	v_fma_f16 v170, v152, v66, -v75
	v_fmac_f16_e32 v168, 0x38b4, v178
	v_sub_f16_e32 v73, v73, v163
	v_sub_f16_e32 v75, v165, v78
	;; [unrolled: 1-line block ×3, first 2 shown]
	s_waitcnt lgkmcnt(4)
	v_lshrrev_b32_e32 v164, 16, v155
	s_waitcnt lgkmcnt(3)
	v_lshrrev_b32_e32 v165, 16, v157
	v_fmac_f16_e32 v150, 0x34f2, v177
	v_fmac_f16_e32 v168, 0x34f2, v172
	v_mul_f16_sdwa v181, v179, v64 dst_sel:DWORD dst_unused:UNUSED_PAD src0_sel:DWORD src1_sel:WORD_1
	v_sub_f16_e32 v163, v166, v169
	v_add_f16_e32 v167, v73, v75
	v_mul_f16_sdwa v73, v164, v65 dst_sel:DWORD dst_unused:UNUSED_PAD src0_sel:DWORD src1_sel:WORD_1
	v_mul_f16_sdwa v75, v165, v67 dst_sel:DWORD dst_unused:UNUSED_PAD src0_sel:DWORD src1_sel:WORD_1
	v_pack_b32_f16 v150, v150, v168
	v_fma_f16 v168, v74, v64, -v181
	v_mul_f16_sdwa v74, v74, v64 dst_sel:DWORD dst_unused:UNUSED_PAD src0_sel:DWORD src1_sel:WORD_1
	v_mul_f16_sdwa v152, v152, v66 dst_sel:DWORD dst_unused:UNUSED_PAD src0_sel:DWORD src1_sel:WORD_1
	;; [unrolled: 1-line block ×3, first 2 shown]
	v_add_f16_e32 v78, v78, v163
	v_mul_f16_sdwa v163, v157, v67 dst_sel:DWORD dst_unused:UNUSED_PAD src0_sel:DWORD src1_sel:WORD_1
	v_fma_f16 v155, v155, v65, -v73
	v_fma_f16 v157, v157, v67, -v75
	v_fmamk_f16 v73, v175, 0x3b9c, v149
	v_fmamk_f16 v75, v178, 0xbb9c, v171
	v_fmac_f16_e32 v74, v179, v64
	v_fmac_f16_e32 v152, v180, v66
	v_fmac_f16_e32 v166, v164, v65
	v_fmac_f16_e32 v163, v165, v67
	v_fmac_f16_e32 v73, 0x38b4, v151
	v_fmac_f16_e32 v75, 0xb8b4, v176
	v_sub_f16_e32 v164, v168, v155
	v_sub_f16_e32 v165, v157, v170
	;; [unrolled: 1-line block ×4, first 2 shown]
	v_fmac_f16_e32 v73, 0x34f2, v167
	v_fmac_f16_e32 v75, 0x34f2, v78
	v_add_f16_e32 v169, v155, v170
	v_add_f16_e32 v164, v164, v165
	v_add_f16_e32 v165, v179, v180
	v_lshrrev_b32_e32 v182, 16, v153
	v_pack_b32_f16 v179, v73, v75
	v_add_f16_e32 v75, v166, v152
	v_fma_f16 v169, -0.5, v169, v153
	v_sub_f16_e32 v181, v74, v163
	v_sub_f16_e32 v180, v166, v152
	;; [unrolled: 1-line block ×3, first 2 shown]
	v_fma_f16 v183, -0.5, v75, v182
	v_sub_f16_e32 v75, v168, v157
	v_fmamk_f16 v73, v181, 0x3b9c, v169
	v_add_co_ci_u32_e64 v69, null, s3, 0, s0
	v_fmac_f16_e32 v173, 0xb8b4, v178
	v_fmamk_f16 v184, v75, 0xbb9c, v183
	v_fmac_f16_e32 v73, 0x38b4, v180
	v_add_co_ci_u32_e32 v69, vcc_lo, 0, v69, vcc_lo
	v_fmac_f16_e32 v173, 0x34f2, v172
	v_fmac_f16_e32 v184, 0xb8b4, v185
	;; [unrolled: 1-line block ×3, first 2 shown]
	global_load_dwordx4 v[68:71], v[68:69], off offset:432
	v_sub_f16_e32 v172, v170, v157
	v_fmac_f16_e32 v174, 0x38b4, v175
	v_fmac_f16_e32 v184, 0x34f2, v165
	v_add_co_u32 v72, s0, s2, v72
	v_fmac_f16_e32 v183, 0x3b9c, v75
	v_fmac_f16_e32 v174, 0x34f2, v177
	v_pack_b32_f16 v184, v73, v184
	v_sub_f16_e32 v73, v155, v168
	v_add_f16_e32 v177, v182, v74
	v_add_co_u32 v72, vcc_lo, 0x800, v72
	v_fmac_f16_e32 v169, 0xbb9c, v181
	v_add_f16_e32 v73, v73, v172
	v_add_f16_e32 v172, v74, v163
	v_sub_f16_e32 v74, v166, v74
	v_fmac_f16_e32 v149, 0xbb9c, v175
	v_fmac_f16_e32 v171, 0x3b9c, v178
	;; [unrolled: 1-line block ×3, first 2 shown]
	v_fmac_f16_e32 v182, -0.5, v172
	v_sub_f16_e32 v172, v152, v163
	v_fmac_f16_e32 v149, 0xb8b4, v151
	v_fmac_f16_e32 v171, 0x38b4, v176
	v_lshrrev_b32_e32 v151, 16, v156
	v_fmamk_f16 v186, v185, 0x3b9c, v182
	v_add_f16_e32 v74, v74, v172
	v_pack_b32_f16 v172, v174, v173
	v_add_f16_e32 v173, v168, v157
	v_fmac_f16_e32 v182, 0xbb9c, v185
	v_fmac_f16_e32 v186, 0xb8b4, v75
	;; [unrolled: 1-line block ×3, first 2 shown]
	s_waitcnt lgkmcnt(2)
	v_lshrrev_b32_e32 v164, 16, v159
	v_fma_f16 v173, -0.5, v173, v153
	v_fmac_f16_e32 v182, 0x38b4, v75
	v_fmac_f16_e32 v186, 0x34f2, v74
	v_add_f16_e32 v153, v153, v168
	v_fmac_f16_e32 v149, 0x34f2, v167
	v_fmamk_f16 v174, v180, 0xbb9c, v173
	v_fmac_f16_e32 v173, 0x3b9c, v180
	v_fmac_f16_e32 v182, 0x34f2, v74
	;; [unrolled: 1-line block ×3, first 2 shown]
	v_add_f16_e32 v153, v153, v155
	v_fmac_f16_e32 v174, 0x38b4, v181
	v_fmac_f16_e32 v173, 0xb8b4, v181
	v_add_f16_e32 v155, v177, v166
	v_lshrrev_b32_e32 v166, 16, v158
	v_add_f16_e32 v153, v153, v170
	v_fmac_f16_e32 v174, 0x34f2, v73
	v_fmac_f16_e32 v173, 0x34f2, v73
	v_add_co_ci_u32_e64 v73, null, s3, 0, s0
	v_fmac_f16_e32 v183, 0x38b4, v185
	v_add_f16_e32 v152, v155, v152
	v_add_f16_e32 v153, v153, v157
	v_add_co_ci_u32_e32 v73, vcc_lo, 0, v73, vcc_lo
	v_fmac_f16_e32 v183, 0x34f2, v165
	v_add_f16_e32 v152, v152, v163
	v_pack_b32_f16 v174, v174, v186
	global_load_dwordx4 v[72:75], v[72:73], off offset:432
	v_pack_b32_f16 v149, v149, v171
	v_pack_b32_f16 v163, v169, v183
	;; [unrolled: 1-line block ×3, first 2 shown]
	s_load_dwordx2 s[2:3], s[4:5], 0x38
	s_mul_i32 s4, s8, 0x9c4
	s_mul_i32 s5, s8, 0xffffdae4
	s_waitcnt vmcnt(1)
	v_mul_f16_sdwa v78, v151, v69 dst_sel:DWORD dst_unused:UNUSED_PAD src0_sel:DWORD src1_sel:WORD_1
	v_mul_f16_sdwa v167, v159, v68 dst_sel:DWORD dst_unused:UNUSED_PAD src0_sel:DWORD src1_sel:WORD_1
	;; [unrolled: 1-line block ×3, first 2 shown]
	s_waitcnt lgkmcnt(0)
	v_mul_f16_sdwa v175, v161, v70 dst_sel:DWORD dst_unused:UNUSED_PAD src0_sel:DWORD src1_sel:WORD_1
	v_mul_f16_sdwa v170, v166, v71 dst_sel:DWORD dst_unused:UNUSED_PAD src0_sel:DWORD src1_sel:WORD_1
	v_fma_f16 v78, v156, v69, -v78
	v_mul_f16_sdwa v156, v156, v69 dst_sel:DWORD dst_unused:UNUSED_PAD src0_sel:DWORD src1_sel:WORD_1
	v_fmac_f16_e32 v167, v164, v68
	v_lshrrev_b32_e32 v164, 16, v161
	v_fma_f16 v159, v159, v68, -v168
	v_lshrrev_b32_e32 v168, 16, v154
	v_fmac_f16_e32 v156, v151, v69
	v_fma_f16 v155, v158, v71, -v170
	v_mul_f16_sdwa v151, v164, v70 dst_sel:DWORD dst_unused:UNUSED_PAD src0_sel:DWORD src1_sel:WORD_1
	v_add_f16_e32 v176, v154, v159
	v_add_f16_e32 v177, v168, v167
	v_fmac_f16_e32 v175, v164, v70
	v_mul_f16_sdwa v164, v158, v71 dst_sel:DWORD dst_unused:UNUSED_PAD src0_sel:DWORD src1_sel:WORD_1
	v_fma_f16 v151, v161, v70, -v151
	v_add_f16_e32 v161, v176, v78
	v_add_f16_e32 v176, v177, v156
	v_lshrrev_b32_e32 v170, 16, v160
	v_fmac_f16_e32 v164, v166, v71
	v_sub_f16_e32 v169, v159, v155
	v_add_f16_e32 v158, v161, v151
	v_add_f16_e32 v161, v176, v175
	v_lshrrev_b32_e32 v176, 16, v80
	v_sub_f16_e32 v165, v167, v164
	v_add_f16_e32 v157, v158, v155
	v_add_f16_e32 v158, v161, v164
	v_pack_b32_f16 v161, v173, v182
	v_pack_b32_f16 v153, v157, v158
	ds_write2_b32 v112, v179, v184 offset0:110 offset1:235
	ds_write2_b32 v121, v172, v174 offset0:95 offset1:220
	;; [unrolled: 1-line block ×5, first 2 shown]
	v_add_f16_e32 v149, v78, v151
	v_add_f16_e32 v150, v159, v155
	v_sub_f16_e32 v152, v78, v159
	v_sub_f16_e32 v153, v151, v155
	v_add_f16_e32 v157, v156, v175
	v_fma_f16 v149, -0.5, v149, v154
	v_fmac_f16_e32 v154, -0.5, v150
	v_sub_f16_e32 v161, v175, v164
	v_add_f16_e32 v150, v152, v153
	v_fma_f16 v152, -0.5, v157, v168
	v_sub_f16_e32 v157, v156, v167
	v_lshrrev_b32_e32 v172, 16, v162
	v_add_f16_e32 v158, v167, v164
	v_sub_f16_e32 v153, v156, v175
	v_add_f16_e32 v157, v157, v161
	v_lshrrev_b32_e32 v161, 16, v79
	v_fmac_f16_e32 v168, -0.5, v158
	v_sub_f16_e32 v158, v78, v151
	v_sub_f16_e32 v78, v159, v78
	;; [unrolled: 1-line block ×5, first 2 shown]
	s_waitcnt vmcnt(0)
	v_mul_f16_sdwa v171, v170, v72 dst_sel:DWORD dst_unused:UNUSED_PAD src0_sel:DWORD src1_sel:WORD_1
	v_mul_f16_sdwa v173, v161, v73 dst_sel:DWORD dst_unused:UNUSED_PAD src0_sel:DWORD src1_sel:WORD_1
	;; [unrolled: 1-line block ×4, first 2 shown]
	v_add_f16_e32 v78, v78, v151
	v_fma_f16 v171, v160, v72, -v171
	v_mul_f16_sdwa v160, v160, v72 dst_sel:DWORD dst_unused:UNUSED_PAD src0_sel:DWORD src1_sel:WORD_1
	v_fma_f16 v173, v79, v73, -v173
	v_mul_f16_sdwa v79, v79, v73 dst_sel:DWORD dst_unused:UNUSED_PAD src0_sel:DWORD src1_sel:WORD_1
	v_fma_f16 v162, v162, v74, -v174
	v_fmac_f16_e32 v177, v172, v74
	v_fmac_f16_e32 v160, v170, v72
	v_mul_f16_sdwa v170, v80, v75 dst_sel:DWORD dst_unused:UNUSED_PAD src0_sel:DWORD src1_sel:WORD_1
	v_fmac_f16_e32 v79, v161, v73
	v_mul_f16_sdwa v161, v176, v75 dst_sel:DWORD dst_unused:UNUSED_PAD src0_sel:DWORD src1_sel:WORD_1
	v_sub_f16_e32 v159, v171, v173
	v_add_f16_e32 v151, v173, v162
	v_fmac_f16_e32 v170, v176, v75
	v_sub_f16_e32 v164, v160, v79
	v_fma_f16 v80, v80, v75, -v161
	v_add_f16_e32 v155, v155, v156
	v_add_f16_e32 v172, v79, v177
	v_sub_f16_e32 v167, v170, v177
	v_fma_f16 v151, -0.5, v151, v77
	v_sub_f16_e32 v161, v80, v162
	v_add_f16_e32 v179, v171, v80
	v_add_f16_e32 v181, v77, v171
	v_sub_f16_e32 v178, v171, v80
	v_sub_f16_e32 v176, v79, v177
	v_add_f16_e32 v156, v159, v161
	v_add_f16_e32 v159, v164, v167
	v_lshrrev_b32_e32 v167, 16, v77
	v_fmac_f16_e32 v77, -0.5, v179
	v_add_f16_e32 v179, v160, v170
	v_sub_f16_e32 v164, v160, v170
	v_sub_f16_e32 v171, v173, v171
	v_fma_f16 v172, -0.5, v172, v167
	v_sub_f16_e32 v182, v162, v80
	v_sub_f16_e32 v183, v79, v160
	;; [unrolled: 1-line block ×3, first 2 shown]
	v_add_f16_e32 v160, v167, v160
	v_fmac_f16_e32 v167, -0.5, v179
	v_sub_f16_e32 v179, v173, v162
	v_fmamk_f16 v161, v165, 0x3b9c, v149
	v_fmac_f16_e32 v149, 0xbb9c, v165
	v_fmamk_f16 v163, v153, 0xbb9c, v154
	v_fmac_f16_e32 v154, 0x3b9c, v153
	;; [unrolled: 2-line block ×3, first 2 shown]
	v_fmamk_f16 v174, v169, 0xbb9c, v152
	v_fmamk_f16 v175, v164, 0x3b9c, v151
	;; [unrolled: 1-line block ×3, first 2 shown]
	v_add_f16_e32 v171, v171, v182
	v_add_f16_e32 v182, v183, v184
	v_fmamk_f16 v183, v176, 0xbb9c, v77
	v_fmamk_f16 v184, v179, 0x3b9c, v167
	v_fmac_f16_e32 v161, 0x38b4, v153
	v_fmac_f16_e32 v77, 0x3b9c, v176
	;; [unrolled: 1-line block ×20, first 2 shown]
	v_add_f16_e32 v78, v181, v173
	v_add_f16_e32 v79, v160, v79
	v_fmac_f16_e32 v152, 0x38b4, v158
	v_fmac_f16_e32 v151, 0xb8b4, v176
	;; [unrolled: 1-line block ×14, first 2 shown]
	v_add_f16_e32 v78, v78, v162
	v_add_f16_e32 v79, v79, v177
	v_fmac_f16_e32 v152, 0x34f2, v155
	v_fmac_f16_e32 v151, 0x34f2, v156
	;; [unrolled: 1-line block ×3, first 2 shown]
	v_pack_b32_f16 v154, v154, v168
	v_pack_b32_f16 v161, v161, v174
	;; [unrolled: 1-line block ×6, first 2 shown]
	v_add_f16_e32 v78, v78, v80
	v_add_f16_e32 v79, v79, v170
	v_pack_b32_f16 v149, v149, v152
	v_pack_b32_f16 v151, v151, v172
	ds_write2_b32 v95, v161, v168 offset0:104 offset1:229
	ds_write2_b32 v119, v150, v153 offset0:89 offset1:214
	;; [unrolled: 1-line block ×4, first 2 shown]
	v_add_co_u32 v77, vcc_lo, 0x3000, v123
	v_pack_b32_f16 v79, v78, v79
	v_add_co_ci_u32_e32 v78, vcc_lo, 0, v124, vcc_lo
	ds_write_b32 v81, v79 offset:2000
	s_waitcnt lgkmcnt(0)
	s_barrier
	buffer_gl0_inv
	global_load_dword v153, v[77:78], off offset:212
	v_add_co_u32 v77, vcc_lo, 0x3800, v123
	v_add_co_ci_u32_e32 v78, vcc_lo, 0, v124, vcc_lo
	s_clause 0x1
	global_load_dword v154, v[77:78], off offset:664
	global_load_dword v155, v[77:78], off offset:1164
	v_add_co_u32 v79, vcc_lo, 0x4800, v123
	v_add_co_ci_u32_e32 v80, vcc_lo, 0, v124, vcc_lo
	v_add_co_u32 v149, vcc_lo, 0x5000, v123
	v_add_co_ci_u32_e32 v150, vcc_lo, 0, v124, vcc_lo
	s_clause 0x2
	global_load_dword v156, v[79:80], off offset:1568
	global_load_dword v157, v[149:150], off offset:20
	global_load_dword v158, v[77:78], off offset:1664
	v_add_co_u32 v77, vcc_lo, 0x4000, v123
	v_add_co_ci_u32_e32 v78, vcc_lo, 0, v124, vcc_lo
	s_clause 0x2
	global_load_dword v159, v[77:78], off offset:116
	global_load_dword v160, v[149:150], off offset:520
	global_load_dword v161, v[149:150], off offset:1020
	;; [unrolled: 6-line block ×3, first 2 shown]
	global_load_dword v165, v[77:78], off offset:1116
	global_load_dword v166, v[149:150], off offset:1520
	;; [unrolled: 1-line block ×6, first 2 shown]
	v_add_co_u32 v77, vcc_lo, 0x5800, v123
	v_add_co_ci_u32_e32 v78, vcc_lo, 0, v124, vcc_lo
	s_clause 0x6
	global_load_dword v171, v[77:78], off offset:472
	global_load_dword v172, v[79:80], off offset:68
	;; [unrolled: 1-line block ×7, first 2 shown]
	ds_read2_b32 v[77:78], v81 offset1:125
	s_waitcnt lgkmcnt(0)
	v_lshrrev_b32_e32 v79, 16, v77
	s_waitcnt vmcnt(24)
	v_mul_f16_sdwa v80, v77, v153 dst_sel:DWORD dst_unused:UNUSED_PAD src0_sel:DWORD src1_sel:WORD_1
	v_mul_f16_sdwa v123, v79, v153 dst_sel:DWORD dst_unused:UNUSED_PAD src0_sel:DWORD src1_sel:WORD_1
	v_fmac_f16_e32 v80, v79, v153
	v_fma_f16 v77, v77, v153, -v123
	v_pack_b32_f16 v77, v77, v80
	ds_write_b32 v81, v77
	ds_read2_b32 v[79:80], v118 offset0:116 offset1:241
	ds_read2_b32 v[123:124], v112 offset0:110 offset1:235
	;; [unrolled: 1-line block ×4, first 2 shown]
	s_waitcnt lgkmcnt(3)
	v_lshrrev_b32_e32 v77, 16, v80
	s_waitcnt lgkmcnt(2)
	v_lshrrev_b32_e32 v153, 16, v123
	s_waitcnt vmcnt(23)
	v_mul_f16_sdwa v178, v80, v154 dst_sel:DWORD dst_unused:UNUSED_PAD src0_sel:DWORD src1_sel:WORD_1
	s_waitcnt vmcnt(22)
	v_mul_f16_sdwa v180, v123, v155 dst_sel:DWORD dst_unused:UNUSED_PAD src0_sel:DWORD src1_sel:WORD_1
	v_mul_f16_sdwa v179, v77, v154 dst_sel:DWORD dst_unused:UNUSED_PAD src0_sel:DWORD src1_sel:WORD_1
	;; [unrolled: 1-line block ×3, first 2 shown]
	v_fmac_f16_e32 v178, v77, v154
	v_fmac_f16_e32 v180, v153, v155
	v_fma_f16 v77, v80, v154, -v179
	v_fma_f16 v80, v123, v155, -v181
	s_waitcnt lgkmcnt(1)
	v_lshrrev_b32_e32 v123, 16, v150
	ds_read2_b32 v[153:154], v95 offset0:104 offset1:229
	s_waitcnt lgkmcnt(1)
	v_lshrrev_b32_e32 v155, 16, v151
	v_pack_b32_f16 v77, v77, v178
	v_pack_b32_f16 v80, v80, v180
	s_waitcnt vmcnt(21)
	v_mul_f16_sdwa v178, v150, v156 dst_sel:DWORD dst_unused:UNUSED_PAD src0_sel:DWORD src1_sel:WORD_1
	v_mul_f16_sdwa v179, v123, v156 dst_sel:DWORD dst_unused:UNUSED_PAD src0_sel:DWORD src1_sel:WORD_1
	s_waitcnt vmcnt(20)
	v_mul_f16_sdwa v180, v151, v157 dst_sel:DWORD dst_unused:UNUSED_PAD src0_sel:DWORD src1_sel:WORD_1
	v_add_nc_u32_e32 v181, 0x800, v81
	v_fmac_f16_e32 v178, v123, v156
	v_mul_f16_sdwa v123, v155, v157 dst_sel:DWORD dst_unused:UNUSED_PAD src0_sel:DWORD src1_sel:WORD_1
	v_fma_f16 v150, v150, v156, -v179
	v_fmac_f16_e32 v180, v155, v157
	ds_read2_b32 v[155:156], v92 offset0:74 offset1:199
	v_lshrrev_b32_e32 v179, 16, v124
	v_fma_f16 v123, v151, v157, -v123
	ds_write2_b32 v181, v77, v80 offset0:113 offset1:238
	v_pack_b32_f16 v77, v150, v178
	v_add_nc_u32_e32 v157, 0x1c00, v81
	s_waitcnt vmcnt(19)
	v_mul_f16_sdwa v80, v179, v158 dst_sel:DWORD dst_unused:UNUSED_PAD src0_sel:DWORD src1_sel:WORD_1
	s_waitcnt lgkmcnt(2)
	v_lshrrev_b32_e32 v151, 16, v153
	v_pack_b32_f16 v150, v123, v180
	v_mul_f16_sdwa v178, v124, v158 dst_sel:DWORD dst_unused:UNUSED_PAD src0_sel:DWORD src1_sel:WORD_1
	s_waitcnt vmcnt(18)
	v_mul_f16_sdwa v180, v153, v159 dst_sel:DWORD dst_unused:UNUSED_PAD src0_sel:DWORD src1_sel:WORD_1
	v_fma_f16 v80, v124, v158, -v80
	v_mul_f16_sdwa v181, v151, v159 dst_sel:DWORD dst_unused:UNUSED_PAD src0_sel:DWORD src1_sel:WORD_1
	ds_read2_b32 v[123:124], v104 offset0:122 offset1:247
	ds_write2_b32 v157, v77, v150 offset0:83 offset1:208
	v_lshrrev_b32_e32 v77, 16, v152
	v_fmac_f16_e32 v180, v151, v159
	v_fma_f16 v150, v153, v159, -v181
	v_fmac_f16_e32 v178, v179, v158
	s_waitcnt vmcnt(17)
	v_mul_f16_sdwa v157, v152, v160 dst_sel:DWORD dst_unused:UNUSED_PAD src0_sel:DWORD src1_sel:WORD_1
	s_waitcnt lgkmcnt(3)
	v_lshrrev_b32_e32 v151, 16, v155
	v_mul_f16_sdwa v153, v77, v160 dst_sel:DWORD dst_unused:UNUSED_PAD src0_sel:DWORD src1_sel:WORD_1
	v_pack_b32_f16 v158, v150, v180
	s_waitcnt vmcnt(16)
	v_mul_f16_sdwa v159, v155, v161 dst_sel:DWORD dst_unused:UNUSED_PAD src0_sel:DWORD src1_sel:WORD_1
	v_fmac_f16_e32 v157, v77, v160
	v_mul_f16_sdwa v150, v151, v161 dst_sel:DWORD dst_unused:UNUSED_PAD src0_sel:DWORD src1_sel:WORD_1
	v_fma_f16 v152, v152, v160, -v153
	v_pack_b32_f16 v80, v80, v178
	v_fmac_f16_e32 v159, v151, v161
	s_waitcnt vmcnt(15)
	v_mul_f16_sdwa v180, v79, v162 dst_sel:DWORD dst_unused:UNUSED_PAD src0_sel:DWORD src1_sel:WORD_1
	v_fma_f16 v153, v155, v161, -v150
	ds_read2_b32 v[150:151], v117 offset0:98 offset1:223
	v_lshrrev_b32_e32 v155, 16, v79
	v_pack_b32_f16 v157, v152, v157
	s_waitcnt lgkmcnt(2)
	v_lshrrev_b32_e32 v160, 16, v124
	v_pack_b32_f16 v159, v153, v159
	ds_read2_b32 v[152:153], v115 offset0:68 offset1:193
	v_mul_f16_sdwa v161, v155, v162 dst_sel:DWORD dst_unused:UNUSED_PAD src0_sel:DWORD src1_sel:WORD_1
	s_waitcnt vmcnt(14)
	v_mul_f16_sdwa v178, v124, v163 dst_sel:DWORD dst_unused:UNUSED_PAD src0_sel:DWORD src1_sel:WORD_1
	v_mul_f16_sdwa v179, v160, v163 dst_sel:DWORD dst_unused:UNUSED_PAD src0_sel:DWORD src1_sel:WORD_1
	v_add_nc_u32_e32 v77, 0xc00, v81
	v_fmac_f16_e32 v180, v155, v162
	v_fma_f16 v79, v79, v162, -v161
	v_fmac_f16_e32 v178, v160, v163
	v_fma_f16 v124, v124, v163, -v179
	v_lshrrev_b32_e32 v155, 16, v154
	v_add_nc_u32_e32 v181, 0x2000, v81
	ds_write2_b32 v77, v80, v158 offset0:107 offset1:232
	ds_write2_b32 v181, v157, v159 offset0:77 offset1:202
	v_pack_b32_f16 v77, v124, v178
	v_pack_b32_f16 v124, v79, v180
	s_waitcnt vmcnt(13)
	v_mul_f16_sdwa v79, v155, v164 dst_sel:DWORD dst_unused:UNUSED_PAD src0_sel:DWORD src1_sel:WORD_1
	v_mul_f16_sdwa v80, v154, v164 dst_sel:DWORD dst_unused:UNUSED_PAD src0_sel:DWORD src1_sel:WORD_1
	s_waitcnt lgkmcnt(3)
	v_lshrrev_b32_e32 v158, 16, v150
	s_waitcnt vmcnt(12)
	v_mul_f16_sdwa v159, v150, v165 dst_sel:DWORD dst_unused:UNUSED_PAD src0_sel:DWORD src1_sel:WORD_1
	s_waitcnt vmcnt(11)
	v_mul_f16_sdwa v163, v156, v166 dst_sel:DWORD dst_unused:UNUSED_PAD src0_sel:DWORD src1_sel:WORD_1
	v_fma_f16 v79, v154, v164, -v79
	v_lshrrev_b32_e32 v154, 16, v156
	v_fmac_f16_e32 v80, v155, v164
	s_waitcnt lgkmcnt(2)
	v_lshrrev_b32_e32 v155, 16, v152
	v_fmac_f16_e32 v159, v158, v165
	v_mul_f16_sdwa v158, v158, v165 dst_sel:DWORD dst_unused:UNUSED_PAD src0_sel:DWORD src1_sel:WORD_1
	v_mul_f16_sdwa v160, v154, v166 dst_sel:DWORD dst_unused:UNUSED_PAD src0_sel:DWORD src1_sel:WORD_1
	s_waitcnt vmcnt(10)
	v_mul_f16_sdwa v161, v152, v167 dst_sel:DWORD dst_unused:UNUSED_PAD src0_sel:DWORD src1_sel:WORD_1
	v_mul_f16_sdwa v162, v155, v167 dst_sel:DWORD dst_unused:UNUSED_PAD src0_sel:DWORD src1_sel:WORD_1
	v_add_nc_u32_e32 v157, 0x400, v81
	v_fma_f16 v150, v150, v165, -v158
	v_fmac_f16_e32 v163, v154, v166
	v_pack_b32_f16 v154, v79, v80
	ds_read2_b32 v[79:80], v102 offset0:92 offset1:217
	v_fma_f16 v156, v156, v166, -v160
	v_fmac_f16_e32 v161, v155, v167
	v_fma_f16 v152, v152, v167, -v162
	v_pack_b32_f16 v150, v150, v159
	v_add_nc_u32_e32 v155, 0x1000, v81
	v_lshrrev_b32_e32 v159, 16, v78
	ds_write2_b32 v157, v77, v124 offset0:119 offset1:244
	v_lshrrev_b32_e32 v77, 16, v151
	v_pack_b32_f16 v152, v152, v161
	v_pack_b32_f16 v156, v156, v163
	v_add_nc_u32_e32 v158, 0x2400, v81
	ds_write2_b32 v155, v154, v150 offset0:101 offset1:226
	ds_write2_b32 v158, v156, v152 offset0:71 offset1:196
	s_waitcnt vmcnt(9)
	v_mul_f16_sdwa v124, v159, v168 dst_sel:DWORD dst_unused:UNUSED_PAD src0_sel:DWORD src1_sel:WORD_1
	s_waitcnt vmcnt(8)
	v_mul_f16_sdwa v152, v77, v169 dst_sel:DWORD dst_unused:UNUSED_PAD src0_sel:DWORD src1_sel:WORD_1
	v_lshrrev_b32_e32 v154, 16, v123
	v_mul_f16_sdwa v155, v151, v169 dst_sel:DWORD dst_unused:UNUSED_PAD src0_sel:DWORD src1_sel:WORD_1
	v_mul_f16_sdwa v150, v78, v168 dst_sel:DWORD dst_unused:UNUSED_PAD src0_sel:DWORD src1_sel:WORD_1
	v_fma_f16 v124, v78, v168, -v124
	v_fma_f16 v151, v151, v169, -v152
	s_waitcnt vmcnt(7)
	v_mul_f16_sdwa v152, v154, v170 dst_sel:DWORD dst_unused:UNUSED_PAD src0_sel:DWORD src1_sel:WORD_1
	v_fmac_f16_e32 v155, v77, v169
	ds_read2_b32 v[77:78], v99 offset0:62 offset1:187
	v_fmac_f16_e32 v150, v159, v168
	v_lshrrev_b32_e32 v156, 16, v153
	v_mul_f16_sdwa v157, v123, v170 dst_sel:DWORD dst_unused:UNUSED_PAD src0_sel:DWORD src1_sel:WORD_1
	v_fma_f16 v123, v123, v170, -v152
	s_waitcnt lgkmcnt(4)
	v_lshrrev_b32_e32 v152, 16, v79
	s_waitcnt vmcnt(6)
	v_mul_f16_sdwa v159, v153, v171 dst_sel:DWORD dst_unused:UNUSED_PAD src0_sel:DWORD src1_sel:WORD_1
	v_mul_f16_sdwa v158, v156, v171 dst_sel:DWORD dst_unused:UNUSED_PAD src0_sel:DWORD src1_sel:WORD_1
	v_fmac_f16_e32 v157, v154, v170
	s_waitcnt vmcnt(5)
	v_mul_f16_sdwa v154, v79, v172 dst_sel:DWORD dst_unused:UNUSED_PAD src0_sel:DWORD src1_sel:WORD_1
	v_mul_f16_sdwa v160, v152, v172 dst_sel:DWORD dst_unused:UNUSED_PAD src0_sel:DWORD src1_sel:WORD_1
	v_fmac_f16_e32 v159, v156, v171
	ds_read_b32 v156, v81 offset:12000
	v_pack_b32_f16 v124, v124, v150
	v_fmac_f16_e32 v154, v152, v172
	v_fma_f16 v79, v79, v172, -v160
	v_lshrrev_b32_e32 v152, 16, v80
	v_pack_b32_f16 v150, v151, v155
	v_fma_f16 v153, v153, v171, -v158
	v_pack_b32_f16 v123, v123, v157
	v_pack_b32_f16 v79, v79, v154
	s_waitcnt vmcnt(4)
	v_mul_f16_sdwa v151, v152, v173 dst_sel:DWORD dst_unused:UNUSED_PAD src0_sel:DWORD src1_sel:WORD_1
	s_waitcnt lgkmcnt(1)
	v_lshrrev_b32_e32 v154, 16, v77
	s_waitcnt vmcnt(3)
	v_mul_f16_sdwa v158, v77, v174 dst_sel:DWORD dst_unused:UNUSED_PAD src0_sel:DWORD src1_sel:WORD_1
	v_mul_f16_sdwa v155, v80, v173 dst_sel:DWORD dst_unused:UNUSED_PAD src0_sel:DWORD src1_sel:WORD_1
	v_lshrrev_b32_e32 v157, 16, v78
	v_fma_f16 v80, v80, v173, -v151
	v_mul_f16_sdwa v151, v154, v174 dst_sel:DWORD dst_unused:UNUSED_PAD src0_sel:DWORD src1_sel:WORD_1
	v_fmac_f16_e32 v158, v154, v174
	v_lshrrev_b32_e32 v154, 16, v149
	v_fmac_f16_e32 v155, v152, v173
	s_waitcnt vmcnt(2)
	v_mul_f16_sdwa v152, v157, v175 dst_sel:DWORD dst_unused:UNUSED_PAD src0_sel:DWORD src1_sel:WORD_1
	v_fma_f16 v77, v77, v174, -v151
	s_waitcnt lgkmcnt(0)
	v_lshrrev_b32_e32 v151, 16, v156
	s_waitcnt vmcnt(1)
	v_mul_f16_sdwa v160, v154, v176 dst_sel:DWORD dst_unused:UNUSED_PAD src0_sel:DWORD src1_sel:WORD_1
	v_mul_f16_sdwa v161, v149, v176 dst_sel:DWORD dst_unused:UNUSED_PAD src0_sel:DWORD src1_sel:WORD_1
	v_fma_f16 v152, v78, v175, -v152
	v_mul_f16_sdwa v78, v78, v175 dst_sel:DWORD dst_unused:UNUSED_PAD src0_sel:DWORD src1_sel:WORD_1
	s_waitcnt vmcnt(0)
	v_mul_f16_sdwa v162, v151, v177 dst_sel:DWORD dst_unused:UNUSED_PAD src0_sel:DWORD src1_sel:WORD_1
	v_mul_f16_sdwa v163, v156, v177 dst_sel:DWORD dst_unused:UNUSED_PAD src0_sel:DWORD src1_sel:WORD_1
	v_fma_f16 v149, v149, v176, -v160
	v_fmac_f16_e32 v161, v154, v176
	v_fmac_f16_e32 v78, v157, v175
	v_fma_f16 v154, v156, v177, -v162
	v_fmac_f16_e32 v163, v151, v177
	v_pack_b32_f16 v151, v153, v159
	v_pack_b32_f16 v77, v77, v158
	;; [unrolled: 1-line block ×6, first 2 shown]
	ds_write2_b32 v81, v124, v123 offset0:125 offset1:250
	ds_write2_b32 v121, v150, v79 offset0:95 offset1:220
	;; [unrolled: 1-line block ×5, first 2 shown]
	s_waitcnt lgkmcnt(0)
	s_barrier
	buffer_gl0_inv
	ds_read2_b32 v[77:78], v117 offset0:98 offset1:223
	ds_read2_b32 v[79:80], v118 offset0:116 offset1:241
	ds_read2_b32 v[123:124], v116 offset0:86 offset1:211
	ds_read2_b32 v[149:150], v115 offset0:68 offset1:193
	ds_read2_b32 v[151:152], v81 offset1:125
	s_waitcnt lgkmcnt(2)
	v_pk_add_f16 v153, v77, v124
	s_waitcnt lgkmcnt(1)
	v_pk_add_f16 v157, v80, v149 neg_lo:[0,1] neg_hi:[0,1]
	v_pk_add_f16 v155, v77, v124 neg_lo:[0,1] neg_hi:[0,1]
	s_waitcnt lgkmcnt(0)
	v_pk_add_f16 v156, v151, v80
	v_pk_add_f16 v160, v149, v124 neg_lo:[0,1] neg_hi:[0,1]
	v_pk_fma_f16 v153, v153, 0.5, v151 op_sel_hi:[1,0,1] neg_lo:[1,0,0] neg_hi:[1,0,0]
	v_pk_mul_f16 v154, 0x3b9c, v157 op_sel_hi:[0,1]
	v_pk_mul_f16 v159, 0x38b4, v155 op_sel_hi:[0,1]
	v_pk_add_f16 v156, v156, v77
	v_pk_mul_f16 v161, 0x3b9c, v155 op_sel_hi:[0,1]
	v_pk_mul_f16 v164, 0x38b4, v157 op_sel_hi:[0,1]
	v_pk_add_f16 v158, v153, v154 op_sel:[0,1] op_sel_hi:[1,0] neg_lo:[0,1] neg_hi:[0,1]
	v_pk_add_f16 v153, v153, v154 op_sel:[0,1] op_sel_hi:[1,0]
	v_pk_add_f16 v154, v80, v77 neg_lo:[0,1] neg_hi:[0,1]
	v_pk_add_f16 v77, v77, v80 neg_lo:[0,1] neg_hi:[0,1]
	v_pk_add_f16 v167, v158, v159 op_sel:[0,1] op_sel_hi:[1,0] neg_lo:[0,1] neg_hi:[0,1]
	v_pk_add_f16 v168, v153, v159 op_sel:[0,1] op_sel_hi:[1,0]
	v_pk_add_f16 v153, v156, v124
	v_pk_add_f16 v156, v80, v149
	v_pk_add_f16 v169, v154, v160
	v_pk_add_f16 v80, v124, v149 neg_lo:[0,1] neg_hi:[0,1]
	v_bfi_b32 v154, 0xffff, v167, v168
	v_pk_add_f16 v170, v153, v149
	v_pk_fma_f16 v151, v156, 0.5, v151 op_sel_hi:[1,0,1] neg_lo:[1,0,0] neg_hi:[1,0,0]
	v_pk_add_f16 v77, v77, v80
	v_pk_fma_f16 v171, 0x34f2, v169, v154 op_sel_hi:[0,1,1]
	ds_read_b32 v172, v81 offset:12000
	ds_read2_b32 v[153:154], v112 offset0:110 offset1:235
	ds_read2_b32 v[155:156], v108 offset0:80 offset1:205
	v_pk_add_f16 v163, v151, v161 op_sel:[0,1] op_sel_hi:[1,0]
	v_pk_add_f16 v151, v151, v161 op_sel:[0,1] op_sel_hi:[1,0] neg_lo:[0,1] neg_hi:[0,1]
	ds_read2_b32 v[157:158], v104 offset0:122 offset1:247
	ds_read2_b32 v[159:160], v102 offset0:92 offset1:217
	;; [unrolled: 1-line block ×3, first 2 shown]
	v_pk_add_f16 v173, v163, v164 op_sel:[0,1] op_sel_hi:[1,0] neg_lo:[0,1] neg_hi:[0,1]
	v_pk_add_f16 v124, v151, v164 op_sel:[0,1] op_sel_hi:[1,0]
	ds_read2_b32 v[163:164], v95 offset0:104 offset1:229
	ds_read2_b32 v[165:166], v92 offset0:74 offset1:199
	s_waitcnt lgkmcnt(0)
	s_barrier
	buffer_gl0_inv
	v_bfi_b32 v80, 0xffff, v173, v124
	ds_write2_b32 v125, v170, v171 offset1:1
	v_bfi_b32 v124, 0xffff, v124, v173
	v_pk_fma_f16 v80, 0x34f2, v77, v80 op_sel_hi:[0,1,1]
	v_pk_add_f16 v170, v153, v150 neg_lo:[0,1] neg_hi:[0,1]
	v_pk_add_f16 v149, v78, v155
	v_pk_add_f16 v151, v153, v150
	v_pk_fma_f16 v77, 0x34f2, v77, v124 op_sel_hi:[0,1,1]
	v_bfi_b32 v124, 0xffff, v168, v167
	v_pk_mul_f16 v167, 0x3b9c, v170 op_sel_hi:[0,1]
	v_pk_fma_f16 v149, v149, 0.5, v152 op_sel_hi:[1,0,1] neg_lo:[1,0,0] neg_hi:[1,0,0]
	v_pk_add_f16 v168, v78, v155 neg_lo:[0,1] neg_hi:[0,1]
	v_pk_fma_f16 v151, v151, 0.5, v152 op_sel_hi:[1,0,1] neg_lo:[1,0,0] neg_hi:[1,0,0]
	v_pk_add_f16 v152, v152, v153
	v_pk_add_f16 v171, v153, v78 neg_lo:[0,1] neg_hi:[0,1]
	v_pk_add_f16 v173, v150, v155 neg_lo:[0,1] neg_hi:[0,1]
	v_pk_add_f16 v174, v149, v167 op_sel:[0,1] op_sel_hi:[1,0] neg_lo:[0,1] neg_hi:[0,1]
	v_pk_mul_f16 v175, 0x38b4, v168 op_sel_hi:[0,1]
	v_pk_add_f16 v149, v149, v167 op_sel:[0,1] op_sel_hi:[1,0]
	v_pk_mul_f16 v167, 0x3b9c, v168 op_sel_hi:[0,1]
	v_pk_add_f16 v152, v152, v78
	v_pk_add_f16 v168, v171, v173
	v_pk_add_f16 v171, v174, v175 op_sel:[0,1] op_sel_hi:[1,0] neg_lo:[0,1] neg_hi:[0,1]
	v_pk_add_f16 v149, v149, v175 op_sel:[0,1] op_sel_hi:[1,0]
	v_pk_add_f16 v173, v151, v167 op_sel:[0,1] op_sel_hi:[1,0]
	v_pk_mul_f16 v170, 0x38b4, v170 op_sel_hi:[0,1]
	v_pk_add_f16 v151, v151, v167 op_sel:[0,1] op_sel_hi:[1,0] neg_lo:[0,1] neg_hi:[0,1]
	v_pk_add_f16 v152, v152, v155
	v_bfi_b32 v167, 0xffff, v171, v149
	v_pk_add_f16 v78, v78, v153 neg_lo:[0,1] neg_hi:[0,1]
	v_pk_add_f16 v153, v155, v150 neg_lo:[0,1] neg_hi:[0,1]
	v_pk_add_f16 v155, v173, v170 op_sel:[0,1] op_sel_hi:[1,0] neg_lo:[0,1] neg_hi:[0,1]
	v_pk_add_f16 v151, v151, v170 op_sel:[0,1] op_sel_hi:[1,0]
	v_pk_fma_f16 v124, 0x34f2, v169, v124 op_sel_hi:[0,1,1]
	v_pk_add_f16 v150, v152, v150
	v_pk_fma_f16 v152, 0x34f2, v168, v167 op_sel_hi:[0,1,1]
	v_pk_add_f16 v78, v78, v153
	v_bfi_b32 v153, 0xffff, v155, v151
	ds_write2_b32 v125, v80, v77 offset0:2 offset1:3
	ds_write_b32 v125, v124 offset:16
	v_pk_add_f16 v124, v159, v156
	v_pk_add_f16 v125, v154, v161 neg_lo:[0,1] neg_hi:[0,1]
	v_bfi_b32 v77, 0xffff, v151, v155
	ds_write2_b32 v128, v150, v152 offset1:1
	v_pk_fma_f16 v80, 0x34f2, v78, v153 op_sel_hi:[0,1,1]
	v_pk_fma_f16 v124, v124, 0.5, v157 op_sel_hi:[1,0,1] neg_lo:[1,0,0] neg_hi:[1,0,0]
	v_pk_mul_f16 v150, 0x3b9c, v125 op_sel_hi:[0,1]
	v_pk_add_f16 v152, v159, v156 neg_lo:[0,1] neg_hi:[0,1]
	v_pk_add_f16 v153, v157, v154
	v_pk_add_f16 v155, v154, v161
	v_pk_fma_f16 v77, 0x34f2, v78, v77 op_sel_hi:[0,1,1]
	v_bfi_b32 v78, 0xffff, v149, v171
	v_pk_add_f16 v149, v154, v159 neg_lo:[0,1] neg_hi:[0,1]
	v_pk_add_f16 v151, v161, v156 neg_lo:[0,1] neg_hi:[0,1]
	v_pk_add_f16 v167, v124, v150 op_sel:[0,1] op_sel_hi:[1,0] neg_lo:[0,1] neg_hi:[0,1]
	v_pk_add_f16 v124, v124, v150 op_sel:[0,1] op_sel_hi:[1,0]
	v_pk_mul_f16 v150, 0x38b4, v152 op_sel_hi:[0,1]
	v_pk_add_f16 v153, v153, v159
	v_pk_fma_f16 v155, v155, 0.5, v157 op_sel_hi:[1,0,1] neg_lo:[1,0,0] neg_hi:[1,0,0]
	v_pk_mul_f16 v152, 0x3b9c, v152 op_sel_hi:[0,1]
	v_pk_add_f16 v149, v149, v151
	v_pk_add_f16 v151, v167, v150 op_sel:[0,1] op_sel_hi:[1,0] neg_lo:[0,1] neg_hi:[0,1]
	v_pk_add_f16 v124, v124, v150 op_sel:[0,1] op_sel_hi:[1,0]
	v_pk_add_f16 v150, v153, v156
	v_pk_add_f16 v153, v155, v152 op_sel:[0,1] op_sel_hi:[1,0]
	v_pk_mul_f16 v125, 0x38b4, v125 op_sel_hi:[0,1]
	v_pk_add_f16 v152, v155, v152 op_sel:[0,1] op_sel_hi:[1,0] neg_lo:[0,1] neg_hi:[0,1]
	v_bfi_b32 v155, 0xffff, v151, v124
	v_pk_add_f16 v154, v159, v154 neg_lo:[0,1] neg_hi:[0,1]
	v_pk_add_f16 v156, v156, v161 neg_lo:[0,1] neg_hi:[0,1]
	v_pk_add_f16 v153, v153, v125 op_sel:[0,1] op_sel_hi:[1,0] neg_lo:[0,1] neg_hi:[0,1]
	v_pk_add_f16 v125, v152, v125 op_sel:[0,1] op_sel_hi:[1,0]
	v_pk_fma_f16 v152, 0x34f2, v149, v155 op_sel_hi:[0,1,1]
	v_pk_fma_f16 v78, 0x34f2, v168, v78 op_sel_hi:[0,1,1]
	v_pk_add_f16 v154, v154, v156
	v_pk_add_f16 v150, v150, v161
	v_bfi_b32 v155, 0xffff, v153, v125
	v_bfi_b32 v125, 0xffff, v125, v153
	ds_write2_b32 v128, v80, v77 offset0:2 offset1:3
	ds_write_b32 v128, v78 offset:16
	ds_write2_b32 v130, v150, v152 offset1:1
	v_bfi_b32 v80, 0xffff, v124, v151
	v_pk_add_f16 v124, v160, v165
	v_pk_fma_f16 v77, 0x34f2, v154, v155 op_sel_hi:[0,1,1]
	v_pk_fma_f16 v78, 0x34f2, v154, v125 op_sel_hi:[0,1,1]
	v_pk_add_f16 v125, v163, v162
	v_pk_add_f16 v128, v163, v162 neg_lo:[0,1] neg_hi:[0,1]
	v_pk_add_f16 v150, v163, v160 neg_lo:[0,1] neg_hi:[0,1]
	;; [unrolled: 1-line block ×3, first 2 shown]
	ds_write2_b32 v130, v77, v78 offset0:2 offset1:3
	v_pk_fma_f16 v77, 0x34f2, v149, v80 op_sel_hi:[0,1,1]
	v_pk_fma_f16 v78, v124, 0.5, v158 op_sel_hi:[1,0,1] neg_lo:[1,0,0] neg_hi:[1,0,0]
	v_pk_fma_f16 v80, v125, 0.5, v158 op_sel_hi:[1,0,1] neg_lo:[1,0,0] neg_hi:[1,0,0]
	v_pk_mul_f16 v124, 0x3b9c, v128 op_sel_hi:[0,1]
	v_pk_add_f16 v125, v160, v165 neg_lo:[0,1] neg_hi:[0,1]
	v_pk_add_f16 v149, v158, v163
	v_pk_mul_f16 v128, 0x38b4, v128 op_sel_hi:[0,1]
	ds_write_b32 v130, v77 offset:16
	v_pk_add_f16 v152, v78, v124 op_sel:[0,1] op_sel_hi:[1,0] neg_lo:[0,1] neg_hi:[0,1]
	v_pk_mul_f16 v153, 0x38b4, v125 op_sel_hi:[0,1]
	v_pk_add_f16 v78, v78, v124 op_sel:[0,1] op_sel_hi:[1,0]
	v_pk_mul_f16 v125, 0x3b9c, v125 op_sel_hi:[0,1]
	v_pk_add_f16 v124, v149, v160
	v_pk_add_f16 v149, v150, v151
	v_pk_add_f16 v150, v152, v153 op_sel:[0,1] op_sel_hi:[1,0] neg_lo:[0,1] neg_hi:[0,1]
	v_pk_add_f16 v78, v78, v153 op_sel:[0,1] op_sel_hi:[1,0]
	v_pk_add_f16 v151, v80, v125 op_sel:[0,1] op_sel_hi:[1,0]
	v_pk_add_f16 v80, v80, v125 op_sel:[0,1] op_sel_hi:[1,0] neg_lo:[0,1] neg_hi:[0,1]
	v_pk_add_f16 v124, v124, v165
	v_pk_add_f16 v152, v160, v163 neg_lo:[0,1] neg_hi:[0,1]
	v_bfi_b32 v125, 0xffff, v150, v78
	v_pk_add_f16 v153, v165, v162 neg_lo:[0,1] neg_hi:[0,1]
	v_pk_add_f16 v151, v151, v128 op_sel:[0,1] op_sel_hi:[1,0] neg_lo:[0,1] neg_hi:[0,1]
	v_pk_add_f16 v80, v80, v128 op_sel:[0,1] op_sel_hi:[1,0]
	v_pk_add_f16 v124, v124, v162
	v_pk_fma_f16 v125, 0x34f2, v149, v125 op_sel_hi:[0,1,1]
	v_pk_add_f16 v77, v152, v153
	v_pk_add_f16 v130, v123, v166 neg_lo:[0,1] neg_hi:[0,1]
	v_bfi_b32 v128, 0xffff, v151, v80
	v_bfi_b32 v80, 0xffff, v80, v151
	ds_write2_b32 v129, v124, v125 offset1:1
	v_pk_add_f16 v124, v123, v166
	v_bfi_b32 v78, 0xffff, v78, v150
	v_pk_fma_f16 v125, 0x34f2, v77, v128 op_sel_hi:[0,1,1]
	v_pk_fma_f16 v77, 0x34f2, v77, v80 op_sel_hi:[0,1,1]
	v_pk_add_f16 v80, v164, v172
	v_pk_add_f16 v128, v164, v172 neg_lo:[0,1] neg_hi:[0,1]
	v_pk_fma_f16 v124, v124, 0.5, v79 op_sel_hi:[1,0,1] neg_lo:[1,0,0] neg_hi:[1,0,0]
	v_pk_mul_f16 v151, 0x3b9c, v130 op_sel_hi:[0,1]
	v_pk_fma_f16 v78, 0x34f2, v149, v78 op_sel_hi:[0,1,1]
	v_pk_fma_f16 v80, v80, 0.5, v79 op_sel_hi:[1,0,1] neg_lo:[1,0,0] neg_hi:[1,0,0]
	v_pk_add_f16 v79, v79, v164
	v_pk_mul_f16 v150, 0x3b9c, v128 op_sel_hi:[0,1]
	v_pk_add_f16 v149, v164, v123 neg_lo:[0,1] neg_hi:[0,1]
	v_pk_add_f16 v153, v123, v164 neg_lo:[0,1] neg_hi:[0,1]
	v_pk_add_f16 v154, v80, v151 op_sel:[0,1] op_sel_hi:[1,0]
	v_pk_add_f16 v79, v79, v123
	v_pk_add_f16 v123, v124, v150 op_sel:[0,1] op_sel_hi:[1,0] neg_lo:[0,1] neg_hi:[0,1]
	v_pk_mul_f16 v128, 0x38b4, v128 op_sel_hi:[0,1]
	v_pk_add_f16 v80, v80, v151 op_sel:[0,1] op_sel_hi:[1,0] neg_lo:[0,1] neg_hi:[0,1]
	v_pk_mul_f16 v130, 0x38b4, v130 op_sel_hi:[0,1]
	v_pk_add_f16 v124, v124, v150 op_sel:[0,1] op_sel_hi:[1,0]
	v_pk_add_f16 v152, v172, v166 neg_lo:[0,1] neg_hi:[0,1]
	v_pk_add_f16 v150, v166, v172 neg_lo:[0,1] neg_hi:[0,1]
	v_pk_add_f16 v151, v154, v128 op_sel:[0,1] op_sel_hi:[1,0] neg_lo:[0,1] neg_hi:[0,1]
	v_pk_add_f16 v80, v80, v128 op_sel:[0,1] op_sel_hi:[1,0]
	v_pk_add_f16 v123, v123, v130 op_sel:[0,1] op_sel_hi:[1,0] neg_lo:[0,1] neg_hi:[0,1]
	v_pk_add_f16 v124, v124, v130 op_sel:[0,1] op_sel_hi:[1,0]
	v_pk_add_f16 v128, v149, v152
	v_pk_add_f16 v79, v79, v166
	;; [unrolled: 1-line block ×3, first 2 shown]
	v_bfi_b32 v149, 0xffff, v151, v80
	v_bfi_b32 v150, 0xffff, v123, v124
	;; [unrolled: 1-line block ×4, first 2 shown]
	v_pk_add_f16 v79, v79, v172
	v_pk_fma_f16 v124, 0x34f2, v130, v149 op_sel_hi:[0,1,1]
	v_pk_fma_f16 v149, 0x34f2, v128, v150 op_sel_hi:[0,1,1]
	;; [unrolled: 1-line block ×4, first 2 shown]
	ds_write2_b32 v129, v125, v77 offset0:2 offset1:3
	ds_write_b32 v129, v78 offset:16
	ds_write2_b32 v133, v79, v149 offset1:1
	ds_write2_b32 v133, v124, v80 offset0:2 offset1:3
	ds_write_b32 v133, v123 offset:16
	s_waitcnt lgkmcnt(0)
	s_barrier
	buffer_gl0_inv
	ds_read2_b32 v[77:78], v112 offset0:110 offset1:235
	ds_read2_b32 v[157:158], v117 offset0:98 offset1:223
	;; [unrolled: 1-line block ×7, first 2 shown]
	s_waitcnt lgkmcnt(6)
	v_lshrrev_b32_e32 v79, 16, v77
	v_mul_f16_sdwa v80, v8, v77 dst_sel:DWORD dst_unused:UNUSED_PAD src0_sel:WORD_1 src1_sel:DWORD
	s_waitcnt lgkmcnt(5)
	v_lshrrev_b32_e32 v123, 16, v158
	s_waitcnt lgkmcnt(3)
	v_lshrrev_b32_e32 v125, 16, v160
	v_mul_f16_sdwa v124, v9, v158 dst_sel:DWORD dst_unused:UNUSED_PAD src0_sel:WORD_1 src1_sel:DWORD
	v_mul_f16_sdwa v150, v8, v79 dst_sel:DWORD dst_unused:UNUSED_PAD src0_sel:WORD_1 src1_sel:DWORD
	v_fma_f16 v133, v8, v79, -v80
	v_lshrrev_b32_e32 v79, 16, v128
	v_mul_f16_sdwa v80, v10, v128 dst_sel:DWORD dst_unused:UNUSED_PAD src0_sel:WORD_1 src1_sel:DWORD
	v_mul_f16_sdwa v130, v11, v160 dst_sel:DWORD dst_unused:UNUSED_PAD src0_sel:WORD_1 src1_sel:DWORD
	;; [unrolled: 1-line block ×5, first 2 shown]
	v_fma_f16 v152, v10, v79, -v80
	v_lshrrev_b32_e32 v79, 16, v78
	v_fma_f16 v151, v9, v123, -v124
	v_fma_f16 v153, v11, v125, -v130
	v_lshrrev_b32_e32 v130, 16, v129
	v_fmac_f16_e32 v155, v9, v158
	v_mul_f16_sdwa v80, v24, v79 dst_sel:DWORD dst_unused:UNUSED_PAD src0_sel:WORD_1 src1_sel:DWORD
	v_fmac_f16_e32 v154, v10, v128
	v_fmac_f16_e32 v156, v11, v160
	v_mul_f16_sdwa v9, v26, v129 dst_sel:DWORD dst_unused:UNUSED_PAD src0_sel:WORD_1 src1_sel:DWORD
	ds_read2_b32 v[10:11], v95 offset0:104 offset1:229
	v_fmac_f16_e32 v150, v8, v77
	v_mul_f16_sdwa v124, v26, v130 dst_sel:DWORD dst_unused:UNUSED_PAD src0_sel:WORD_1 src1_sel:DWORD
	v_fmac_f16_e32 v80, v24, v78
	v_mul_f16_sdwa v8, v24, v78 dst_sel:DWORD dst_unused:UNUSED_PAD src0_sel:WORD_1 src1_sel:DWORD
	s_waitcnt lgkmcnt(3)
	v_lshrrev_b32_e32 v77, 16, v161
	v_mul_f16_sdwa v78, v25, v161 dst_sel:DWORD dst_unused:UNUSED_PAD src0_sel:WORD_1 src1_sel:DWORD
	v_fma_f16 v125, v26, v130, -v9
	v_lshrrev_b32_e32 v9, 16, v162
	v_fmac_f16_e32 v124, v26, v129
	v_fma_f16 v123, v24, v79, -v8
	v_fma_f16 v129, v25, v77, -v78
	s_waitcnt lgkmcnt(2)
	v_lshrrev_b32_e32 v8, 16, v163
	v_mul_f16_sdwa v24, v27, v163 dst_sel:DWORD dst_unused:UNUSED_PAD src0_sel:WORD_1 src1_sel:DWORD
	v_mul_f16_sdwa v149, v25, v77 dst_sel:DWORD dst_unused:UNUSED_PAD src0_sel:WORD_1 src1_sel:DWORD
	v_lshrrev_b32_e32 v77, 16, v164
	v_mul_f16_sdwa v26, v21, v9 dst_sel:DWORD dst_unused:UNUSED_PAD src0_sel:WORD_1 src1_sel:DWORD
	v_mul_f16_sdwa v130, v27, v8 dst_sel:DWORD dst_unused:UNUSED_PAD src0_sel:WORD_1 src1_sel:DWORD
	v_fma_f16 v128, v27, v8, -v24
	v_fmac_f16_e32 v149, v25, v161
	v_mul_f16_sdwa v24, v23, v77 dst_sel:DWORD dst_unused:UNUSED_PAD src0_sel:WORD_1 src1_sel:DWORD
	v_fmac_f16_e32 v26, v21, v162
	v_mul_f16_sdwa v8, v21, v162 dst_sel:DWORD dst_unused:UNUSED_PAD src0_sel:WORD_1 src1_sel:DWORD
	v_mul_f16_sdwa v25, v23, v164 dst_sel:DWORD dst_unused:UNUSED_PAD src0_sel:WORD_1 src1_sel:DWORD
	s_waitcnt lgkmcnt(1)
	v_lshrrev_b32_e32 v162, 16, v165
	v_mul_f16_sdwa v160, v22, v165 dst_sel:DWORD dst_unused:UNUSED_PAD src0_sel:WORD_1 src1_sel:DWORD
	v_fmac_f16_e32 v130, v27, v163
	v_fmac_f16_e32 v24, v23, v164
	s_waitcnt lgkmcnt(0)
	v_lshrrev_b32_e32 v78, 16, v10
	v_mul_f16_sdwa v79, v20, v10 dst_sel:DWORD dst_unused:UNUSED_PAD src0_sel:WORD_1 src1_sel:DWORD
	v_fma_f16 v27, v21, v9, -v8
	v_fma_f16 v23, v23, v77, -v25
	;; [unrolled: 1-line block ×3, first 2 shown]
	ds_read2_b32 v[160:161], v116 offset0:86 offset1:211
	ds_read2_b32 v[8:9], v118 offset0:116 offset1:241
	v_fma_f16 v77, v20, v78, -v79
	v_mul_f16_sdwa v79, v20, v78 dst_sel:DWORD dst_unused:UNUSED_PAD src0_sel:WORD_1 src1_sel:DWORD
	v_mul_f16_sdwa v78, v22, v162 dst_sel:DWORD dst_unused:UNUSED_PAD src0_sel:WORD_1 src1_sel:DWORD
	v_lshrrev_b32_e32 v162, 16, v11
	v_lshrrev_b32_e32 v163, 16, v166
	ds_read_b32 v158, v81 offset:12000
	v_fmac_f16_e32 v79, v20, v10
	v_mul_f16_sdwa v10, v12, v11 dst_sel:DWORD dst_unused:UNUSED_PAD src0_sel:WORD_1 src1_sel:DWORD
	v_mul_f16_sdwa v21, v12, v162 dst_sel:DWORD dst_unused:UNUSED_PAD src0_sel:WORD_1 src1_sel:DWORD
	v_fmac_f16_e32 v78, v22, v165
	v_mul_f16_sdwa v20, v14, v163 dst_sel:DWORD dst_unused:UNUSED_PAD src0_sel:WORD_1 src1_sel:DWORD
	v_mul_f16_sdwa v165, v14, v166 dst_sel:DWORD dst_unused:UNUSED_PAD src0_sel:WORD_1 src1_sel:DWORD
	v_lshrrev_b32_e32 v168, 16, v159
	v_fmac_f16_e32 v21, v12, v11
	v_fma_f16 v12, v12, v162, -v10
	ds_read2_b32 v[10:11], v81 offset1:125
	v_fmac_f16_e32 v20, v14, v166
	v_fma_f16 v14, v14, v163, -v165
	s_waitcnt lgkmcnt(3)
	v_lshrrev_b32_e32 v163, 16, v161
	s_waitcnt lgkmcnt(2)
	v_lshrrev_b32_e32 v167, 16, v9
	v_lshrrev_b32_e32 v162, 16, v157
	v_mul_f16_sdwa v171, v3, v168 dst_sel:DWORD dst_unused:UNUSED_PAD src0_sel:WORD_1 src1_sel:DWORD
	v_lshrrev_b32_e32 v165, 16, v160
	v_mul_f16_sdwa v169, v2, v163 dst_sel:DWORD dst_unused:UNUSED_PAD src0_sel:WORD_1 src1_sel:DWORD
	v_mul_f16_sdwa v170, v0, v167 dst_sel:DWORD dst_unused:UNUSED_PAD src0_sel:WORD_1 src1_sel:DWORD
	;; [unrolled: 1-line block ×3, first 2 shown]
	v_fmac_f16_e32 v171, v3, v159
	v_mul_f16_sdwa v159, v3, v159 dst_sel:DWORD dst_unused:UNUSED_PAD src0_sel:WORD_1 src1_sel:DWORD
	v_fmac_f16_e32 v169, v2, v161
	v_mul_f16_sdwa v161, v2, v161 dst_sel:DWORD dst_unused:UNUSED_PAD src0_sel:WORD_1 src1_sel:DWORD
	;; [unrolled: 2-line block ×4, first 2 shown]
	v_fma_f16 v2, v2, v163, -v161
	s_waitcnt lgkmcnt(0)
	v_lshrrev_b32_e32 v161, 16, v10
	v_fma_f16 v9, v0, v167, -v9
	v_fma_f16 v3, v3, v168, -v159
	;; [unrolled: 1-line block ×3, first 2 shown]
	v_sub_f16_e32 v1, v170, v166
	v_sub_f16_e32 v162, v171, v169
	v_add_f16_e32 v168, v10, v170
	v_add_f16_e32 v172, v161, v9
	v_lshrrev_b32_e32 v164, 16, v158
	v_sub_f16_e32 v163, v3, v2
	v_add_f16_e32 v159, v1, v162
	v_sub_f16_e32 v1, v9, v157
	v_add_f16_e32 v168, v168, v166
	v_add_f16_e32 v172, v172, v157
	v_mul_f16_sdwa v22, v15, v164 dst_sel:DWORD dst_unused:UNUSED_PAD src0_sel:WORD_1 src1_sel:DWORD
	v_mul_f16_sdwa v0, v13, v160 dst_sel:DWORD dst_unused:UNUSED_PAD src0_sel:WORD_1 src1_sel:DWORD
	v_add_f16_e32 v163, v1, v163
	v_add_f16_e32 v1, v168, v169
	;; [unrolled: 1-line block ×3, first 2 shown]
	v_fmac_f16_e32 v22, v15, v158
	v_mul_f16_sdwa v158, v15, v158 dst_sel:DWORD dst_unused:UNUSED_PAD src0_sel:WORD_1 src1_sel:DWORD
	v_mul_f16_sdwa v172, v13, v165 dst_sel:DWORD dst_unused:UNUSED_PAD src0_sel:WORD_1 src1_sel:DWORD
	v_add_f16_e32 v1, v1, v171
	v_add_f16_e32 v168, v168, v3
	v_add_f16_e32 v162, v166, v169
	v_add_f16_e32 v167, v157, v2
	v_fma_f16 v15, v15, v164, -v158
	v_fma_f16 v158, v13, v165, -v0
	v_fmac_f16_e32 v172, v13, v160
	v_pack_b32_f16 v13, v1, v168
	v_add_f16_e32 v164, v170, v171
	v_add_f16_e32 v168, v9, v3
	v_fma_f16 v162, -0.5, v162, v10
	v_fma_f16 v167, -0.5, v167, v161
	v_sub_f16_e32 v176, v157, v2
	v_sub_f16_e32 v178, v166, v169
	;; [unrolled: 1-line block ×4, first 2 shown]
	v_fma_f16 v10, -0.5, v164, v10
	v_fmac_f16_e32 v161, -0.5, v168
	v_sub_f16_e32 v173, v9, v3
	v_sub_f16_e32 v174, v170, v171
	v_add_f16_e32 v164, v165, v166
	v_fmamk_f16 v165, v176, 0x3b9c, v10
	v_sub_f16_e32 v9, v157, v9
	v_fmac_f16_e32 v10, 0xbb9c, v176
	v_sub_f16_e32 v2, v2, v3
	v_fmamk_f16 v3, v178, 0xbb9c, v161
	v_fmac_f16_e32 v161, 0x3b9c, v178
	v_fmamk_f16 v175, v173, 0xbb9c, v162
	v_fmac_f16_e32 v165, 0xb8b4, v173
	v_fmac_f16_e32 v10, 0x38b4, v173
	v_add_f16_e32 v2, v9, v2
	v_fmac_f16_e32 v3, 0x38b4, v174
	v_fmac_f16_e32 v161, 0xb8b4, v174
	;; [unrolled: 1-line block ×3, first 2 shown]
	v_fmamk_f16 v177, v174, 0x3b9c, v167
	v_fmac_f16_e32 v167, 0xbb9c, v174
	v_fmac_f16_e32 v175, 0xb8b4, v176
	;; [unrolled: 1-line block ×10, first 2 shown]
	v_pack_b32_f16 v2, v165, v3
	v_pack_b32_f16 v3, v10, v161
	v_fmac_f16_e32 v162, 0x34f2, v159
	v_sub_f16_e32 v157, v133, v151
	v_sub_f16_e32 v159, v153, v152
	v_lshrrev_b32_e32 v161, 16, v11
	v_fmac_f16_e32 v177, 0x34f2, v163
	v_sub_f16_e32 v9, v150, v155
	v_sub_f16_e32 v10, v156, v154
	v_fmac_f16_e32 v167, 0x34f2, v163
	v_add_f16_e32 v163, v155, v154
	v_add_f16_e32 v164, v151, v152
	v_add_f16_e32 v157, v157, v159
	v_add_f16_e32 v159, v161, v133
	v_add_f16_e32 v9, v9, v10
	v_add_f16_e32 v10, v11, v150
	v_fma_f16 v163, -0.5, v163, v11
	v_sub_f16_e32 v165, v133, v153
	v_fma_f16 v164, -0.5, v164, v161
	v_sub_f16_e32 v166, v150, v156
	ds_read2_b32 v[0:1], v104 offset0:122 offset1:247
	v_add_f16_e32 v159, v159, v151
	v_add_f16_e32 v173, v150, v156
	;; [unrolled: 1-line block ×4, first 2 shown]
	v_fmamk_f16 v168, v165, 0xbb9c, v163
	v_sub_f16_e32 v169, v151, v152
	v_fmamk_f16 v170, v166, 0x3b9c, v164
	v_sub_f16_e32 v171, v155, v154
	v_add_f16_e32 v159, v159, v152
	v_fmac_f16_e32 v11, -0.5, v173
	v_fmac_f16_e32 v161, -0.5, v174
	v_add_f16_e32 v10, v10, v154
	v_fmac_f16_e32 v168, 0xb8b4, v169
	v_fmac_f16_e32 v170, 0x38b4, v171
	v_add_f16_e32 v159, v159, v153
	v_sub_f16_e32 v150, v155, v150
	v_sub_f16_e32 v154, v154, v156
	;; [unrolled: 1-line block ×4, first 2 shown]
	v_fmamk_f16 v152, v169, 0x3b9c, v11
	v_fmac_f16_e32 v11, 0xbb9c, v169
	v_fmamk_f16 v153, v171, 0xbb9c, v161
	v_fmac_f16_e32 v161, 0x3b9c, v171
	v_add_f16_e32 v10, v10, v156
	v_fmac_f16_e32 v168, 0x34f2, v9
	v_fmac_f16_e32 v170, 0x34f2, v157
	v_pack_b32_f16 v160, v175, v177
	v_add_f16_e32 v150, v150, v154
	v_add_f16_e32 v133, v133, v151
	v_fmac_f16_e32 v11, 0x38b4, v165
	v_fmac_f16_e32 v161, 0xb8b4, v166
	v_pack_b32_f16 v151, v162, v167
	v_pack_b32_f16 v10, v10, v159
	v_pack_b32_f16 v154, v168, v170
	s_waitcnt lgkmcnt(0)
	s_barrier
	buffer_gl0_inv
	v_fmac_f16_e32 v11, 0x34f2, v150
	v_fmac_f16_e32 v161, 0x34f2, v133
	ds_write2_b32 v127, v13, v160 offset1:5
	ds_write2_b32 v127, v2, v3 offset0:10 offset1:15
	ds_write_b32 v127, v151 offset:80
	ds_write2_b32 v126, v10, v154 offset1:5
	v_lshrrev_b32_e32 v3, 16, v0
	v_fmac_f16_e32 v163, 0x3b9c, v165
	v_add_f16_e32 v10, v0, v80
	v_pack_b32_f16 v2, v11, v161
	v_fmac_f16_e32 v153, 0x38b4, v166
	v_add_f16_e32 v11, v3, v123
	v_fmac_f16_e32 v163, 0x38b4, v169
	v_add_f16_e32 v10, v10, v149
	v_fmac_f16_e32 v152, 0xb8b4, v165
	v_fmac_f16_e32 v153, 0x34f2, v133
	v_add_f16_e32 v11, v11, v129
	v_fmac_f16_e32 v163, 0x34f2, v9
	v_sub_f16_e32 v9, v80, v149
	v_sub_f16_e32 v13, v130, v124
	;; [unrolled: 1-line block ×4, first 2 shown]
	v_add_f16_e32 v10, v10, v124
	v_add_f16_e32 v11, v11, v125
	v_fmac_f16_e32 v152, 0x34f2, v150
	v_add_f16_e32 v9, v9, v13
	v_add_f16_e32 v13, v127, v133
	;; [unrolled: 1-line block ×5, first 2 shown]
	v_pack_b32_f16 v150, v152, v153
	v_sub_f16_e32 v152, v129, v125
	v_fma_f16 v127, -0.5, v127, v0
	v_sub_f16_e32 v133, v149, v124
	v_pack_b32_f16 v10, v10, v11
	v_add_f16_e32 v11, v149, v124
	v_sub_f16_e32 v149, v149, v80
	v_sub_f16_e32 v124, v124, v130
	;; [unrolled: 1-line block ×3, first 2 shown]
	v_add_f16_e32 v130, v129, v125
	v_add_f16_e32 v153, v123, v128
	v_sub_f16_e32 v154, v123, v128
	v_fmamk_f16 v155, v152, 0x3b9c, v127
	v_fmac_f16_e32 v127, 0xbb9c, v152
	v_fma_f16 v130, -0.5, v130, v3
	v_fma_f16 v0, -0.5, v11, v0
	v_add_f16_e32 v124, v149, v124
	v_fmac_f16_e32 v3, -0.5, v153
	v_fmac_f16_e32 v155, 0xb8b4, v154
	v_fmac_f16_e32 v127, 0x38b4, v154
	v_sub_f16_e32 v11, v125, v128
	v_fmamk_f16 v125, v154, 0xbb9c, v0
	v_fmamk_f16 v128, v80, 0x3b9c, v130
	v_fmac_f16_e32 v164, 0xbb9c, v166
	v_sub_f16_e32 v123, v129, v123
	v_fmac_f16_e32 v155, 0x34f2, v124
	v_fmac_f16_e32 v127, 0x34f2, v124
	v_fmamk_f16 v124, v133, 0xbb9c, v3
	v_fmac_f16_e32 v3, 0x3b9c, v133
	v_fmac_f16_e32 v125, 0xb8b4, v152
	;; [unrolled: 1-line block ×6, first 2 shown]
	v_add_f16_e32 v11, v123, v11
	v_fmac_f16_e32 v124, 0x38b4, v80
	v_fmac_f16_e32 v3, 0xb8b4, v80
	;; [unrolled: 1-line block ×9, first 2 shown]
	v_pack_b32_f16 v11, v125, v128
	v_fmac_f16_e32 v0, 0x34f2, v9
	v_fmac_f16_e32 v130, 0x34f2, v13
	v_pack_b32_f16 v151, v163, v164
	v_pack_b32_f16 v9, v155, v124
	;; [unrolled: 1-line block ×3, first 2 shown]
	ds_write2_b32 v126, v150, v2 offset0:10 offset1:15
	ds_write_b32 v126, v151 offset:80
	v_pack_b32_f16 v0, v0, v130
	ds_write2_b32 v131, v10, v11 offset1:5
	ds_write2_b32 v131, v9, v3 offset0:10 offset1:15
	v_sub_f16_e32 v9, v77, v27
	v_sub_f16_e32 v10, v23, v25
	;; [unrolled: 1-line block ×4, first 2 shown]
	ds_write_b32 v131, v0 offset:80
	v_lshrrev_b32_e32 v0, 16, v1
	v_add_f16_e32 v13, v26, v78
	v_add_f16_e32 v9, v9, v10
	;; [unrolled: 1-line block ×6, first 2 shown]
	v_fma_f16 v13, -0.5, v13, v1
	v_sub_f16_e32 v80, v77, v23
	v_fma_f16 v10, -0.5, v10, v0
	v_sub_f16_e32 v123, v79, v24
	v_add_f16_e32 v3, v3, v26
	v_add_f16_e32 v11, v11, v27
	v_fmamk_f16 v124, v80, 0xbb9c, v13
	v_sub_f16_e32 v125, v27, v25
	v_fmamk_f16 v126, v123, 0x3b9c, v10
	v_sub_f16_e32 v127, v26, v78
	v_sub_f16_e32 v26, v26, v79
	v_add_f16_e32 v79, v79, v24
	v_add_f16_e32 v3, v3, v78
	;; [unrolled: 1-line block ×3, first 2 shown]
	v_fmac_f16_e32 v124, 0xb8b4, v125
	v_fmac_f16_e32 v126, 0x38b4, v127
	;; [unrolled: 1-line block ×4, first 2 shown]
	v_fmac_f16_e32 v1, -0.5, v79
	v_add_f16_e32 v79, v77, v23
	v_add_f16_e32 v3, v3, v24
	v_add_f16_e32 v11, v11, v23
	v_fmac_f16_e32 v124, 0x34f2, v2
	v_fmac_f16_e32 v126, 0x34f2, v9
	;; [unrolled: 1-line block ×4, first 2 shown]
	v_fmac_f16_e32 v0, -0.5, v79
	v_pack_b32_f16 v3, v3, v11
	v_pack_b32_f16 v11, v124, v126
	v_fmac_f16_e32 v13, 0x34f2, v2
	v_fmac_f16_e32 v10, 0x34f2, v9
	v_sub_f16_e32 v24, v78, v24
	v_sub_f16_e32 v27, v27, v77
	v_fmamk_f16 v77, v125, 0x3b9c, v1
	v_fmac_f16_e32 v1, 0xbb9c, v125
	v_sub_f16_e32 v23, v25, v23
	v_fmamk_f16 v25, v127, 0xbb9c, v0
	v_fmac_f16_e32 v0, 0x3b9c, v127
	ds_write2_b32 v132, v3, v11 offset1:5
	v_sub_f16_e32 v2, v21, v172
	v_sub_f16_e32 v3, v22, v20
	v_pack_b32_f16 v9, v13, v10
	v_sub_f16_e32 v10, v12, v158
	v_sub_f16_e32 v11, v15, v14
	v_lshrrev_b32_e32 v13, 16, v8
	v_add_f16_e32 v24, v26, v24
	v_fmac_f16_e32 v1, 0x38b4, v80
	v_add_f16_e32 v23, v27, v23
	v_fmac_f16_e32 v0, 0xb8b4, v123
	v_fmac_f16_e32 v77, 0xb8b4, v80
	;; [unrolled: 1-line block ×3, first 2 shown]
	v_add_f16_e32 v2, v2, v3
	v_add_f16_e32 v3, v8, v21
	;; [unrolled: 1-line block ×4, first 2 shown]
	v_fmac_f16_e32 v1, 0x34f2, v24
	v_fmac_f16_e32 v0, 0x34f2, v23
	;; [unrolled: 1-line block ×4, first 2 shown]
	v_add_f16_e32 v23, v172, v20
	v_add_f16_e32 v24, v158, v14
	;; [unrolled: 1-line block ×6, first 2 shown]
	v_pack_b32_f16 v0, v1, v0
	v_pack_b32_f16 v1, v77, v25
	v_fma_f16 v23, -0.5, v23, v8
	v_sub_f16_e32 v25, v12, v15
	v_fma_f16 v24, -0.5, v24, v13
	v_sub_f16_e32 v26, v21, v22
	v_add_f16_e32 v3, v3, v20
	v_sub_f16_e32 v77, v158, v14
	v_add_f16_e32 v11, v11, v14
	v_sub_f16_e32 v79, v172, v20
	v_fmac_f16_e32 v8, -0.5, v80
	v_fmac_f16_e32 v13, -0.5, v123
	v_fmamk_f16 v27, v25, 0xbb9c, v23
	v_fmamk_f16 v78, v26, 0x3b9c, v24
	v_add_f16_e32 v3, v3, v22
	v_add_f16_e32 v11, v11, v15
	v_sub_f16_e32 v21, v172, v21
	v_sub_f16_e32 v20, v20, v22
	;; [unrolled: 1-line block ×4, first 2 shown]
	v_fmamk_f16 v15, v77, 0x3b9c, v8
	v_fmac_f16_e32 v8, 0xbb9c, v77
	v_fmamk_f16 v22, v79, 0xbb9c, v13
	v_fmac_f16_e32 v13, 0x3b9c, v79
	v_fmac_f16_e32 v23, 0x3b9c, v25
	;; [unrolled: 1-line block ×5, first 2 shown]
	v_add_f16_e32 v20, v21, v20
	v_fmac_f16_e32 v8, 0x38b4, v25
	v_add_f16_e32 v12, v12, v14
	v_fmac_f16_e32 v13, 0xb8b4, v26
	v_fmac_f16_e32 v15, 0xb8b4, v25
	;; [unrolled: 1-line block ×13, first 2 shown]
	v_pack_b32_f16 v2, v3, v11
	v_pack_b32_f16 v3, v27, v78
	;; [unrolled: 1-line block ×5, first 2 shown]
	ds_write2_b32 v132, v1, v0 offset0:10 offset1:15
	ds_write_b32 v132, v9 offset:80
	ds_write2_b32 v139, v2, v3 offset1:5
	ds_write2_b32 v139, v10, v8 offset0:10 offset1:15
	ds_write_b32 v139, v11 offset:80
	s_waitcnt lgkmcnt(0)
	s_barrier
	buffer_gl0_inv
	ds_read2_b32 v[0:1], v112 offset0:110 offset1:235
	ds_read2_b32 v[127:128], v117 offset0:98 offset1:223
	;; [unrolled: 1-line block ×4, first 2 shown]
	ds_read_b32 v25, v81 offset:12000
	s_waitcnt lgkmcnt(4)
	v_lshrrev_b32_e32 v8, 16, v0
	s_waitcnt lgkmcnt(3)
	v_lshrrev_b32_e32 v10, 16, v128
	v_mul_f16_sdwa v11, v49, v128 dst_sel:DWORD dst_unused:UNUSED_PAD src0_sel:WORD_1 src1_sel:DWORD
	v_mul_f16_sdwa v9, v48, v0 dst_sel:DWORD dst_unused:UNUSED_PAD src0_sel:WORD_1 src1_sel:DWORD
	s_waitcnt lgkmcnt(2)
	v_lshrrev_b32_e32 v12, 16, v2
	v_mul_f16_sdwa v79, v48, v8 dst_sel:DWORD dst_unused:UNUSED_PAD src0_sel:WORD_1 src1_sel:DWORD
	v_mul_f16_sdwa v80, v49, v10 dst_sel:DWORD dst_unused:UNUSED_PAD src0_sel:WORD_1 src1_sel:DWORD
	v_fma_f16 v78, v49, v10, -v11
	v_mul_f16_sdwa v11, v50, v2 dst_sel:DWORD dst_unused:UNUSED_PAD src0_sel:WORD_1 src1_sel:DWORD
	v_fma_f16 v77, v48, v8, -v9
	ds_read2_b32 v[8:9], v102 offset0:92 offset1:217
	v_mul_f16_sdwa v125, v50, v12 dst_sel:DWORD dst_unused:UNUSED_PAD src0_sel:WORD_1 src1_sel:DWORD
	s_waitcnt lgkmcnt(2)
	v_lshrrev_b32_e32 v13, 16, v130
	v_fma_f16 v123, v50, v12, -v11
	v_lshrrev_b32_e32 v12, 16, v1
	v_mul_f16_sdwa v14, v51, v130 dst_sel:DWORD dst_unused:UNUSED_PAD src0_sel:WORD_1 src1_sel:DWORD
	ds_read2_b32 v[10:11], v99 offset0:62 offset1:187
	v_mul_f16_sdwa v126, v51, v13 dst_sel:DWORD dst_unused:UNUSED_PAD src0_sel:WORD_1 src1_sel:DWORD
	v_fmac_f16_e32 v79, v48, v0
	v_mul_f16_sdwa v23, v44, v12 dst_sel:DWORD dst_unused:UNUSED_PAD src0_sel:WORD_1 src1_sel:DWORD
	v_fma_f16 v124, v51, v13, -v14
	v_lshrrev_b32_e32 v13, 16, v3
	v_mul_f16_sdwa v0, v44, v1 dst_sel:DWORD dst_unused:UNUSED_PAD src0_sel:WORD_1 src1_sel:DWORD
	v_fmac_f16_e32 v125, v50, v2
	v_fmac_f16_e32 v23, v44, v1
	v_mul_f16_sdwa v1, v46, v3 dst_sel:DWORD dst_unused:UNUSED_PAD src0_sel:WORD_1 src1_sel:DWORD
	v_mul_f16_sdwa v48, v46, v13 dst_sel:DWORD dst_unused:UNUSED_PAD src0_sel:WORD_1 src1_sel:DWORD
	v_fma_f16 v26, v44, v12, -v0
	v_fmac_f16_e32 v80, v49, v128
	v_fmac_f16_e32 v126, v51, v130
	v_fma_f16 v27, v46, v13, -v1
	ds_read2_b32 v[1:2], v95 offset0:104 offset1:229
	v_fmac_f16_e32 v48, v46, v3
	s_waitcnt lgkmcnt(2)
	v_lshrrev_b32_e32 v3, 16, v8
	v_mul_f16_sdwa v14, v45, v8 dst_sel:DWORD dst_unused:UNUSED_PAD src0_sel:WORD_1 src1_sel:DWORD
	ds_read2_b32 v[12:13], v92 offset0:74 offset1:199
	s_waitcnt lgkmcnt(2)
	v_lshrrev_b32_e32 v0, 16, v10
	v_lshrrev_b32_e32 v20, 16, v11
	v_mul_f16_sdwa v49, v45, v3 dst_sel:DWORD dst_unused:UNUSED_PAD src0_sel:WORD_1 src1_sel:DWORD
	v_fma_f16 v44, v45, v3, -v14
	v_mul_f16_sdwa v14, v47, v10 dst_sel:DWORD dst_unused:UNUSED_PAD src0_sel:WORD_1 src1_sel:DWORD
	v_mul_f16_sdwa v50, v47, v0 dst_sel:DWORD dst_unused:UNUSED_PAD src0_sel:WORD_1 src1_sel:DWORD
	v_lshrrev_b32_e32 v3, 16, v9
	v_fmac_f16_e32 v49, v45, v8
	v_mul_f16_sdwa v8, v43, v11 dst_sel:DWORD dst_unused:UNUSED_PAD src0_sel:WORD_1 src1_sel:DWORD
	v_fma_f16 v46, v47, v0, -v14
	v_mul_f16_sdwa v0, v41, v9 dst_sel:DWORD dst_unused:UNUSED_PAD src0_sel:WORD_1 src1_sel:DWORD
	v_mul_f16_sdwa v14, v41, v3 dst_sel:DWORD dst_unused:UNUSED_PAD src0_sel:WORD_1 src1_sel:DWORD
	ds_read2_b32 v[130:131], v116 offset0:86 offset1:211
	v_mul_f16_sdwa v15, v43, v20 dst_sel:DWORD dst_unused:UNUSED_PAD src0_sel:WORD_1 src1_sel:DWORD
	v_fma_f16 v20, v43, v20, -v8
	v_fma_f16 v21, v41, v3, -v0
	s_waitcnt lgkmcnt(2)
	v_lshrrev_b32_e32 v0, 16, v1
	v_fmac_f16_e32 v14, v41, v9
	v_mul_f16_sdwa v3, v40, v1 dst_sel:DWORD dst_unused:UNUSED_PAD src0_sel:WORD_1 src1_sel:DWORD
	s_waitcnt lgkmcnt(1)
	v_lshrrev_b32_e32 v8, 16, v12
	v_fmac_f16_e32 v15, v43, v11
	v_mul_f16_sdwa v41, v40, v0 dst_sel:DWORD dst_unused:UNUSED_PAD src0_sel:WORD_1 src1_sel:DWORD
	v_mul_f16_sdwa v9, v42, v12 dst_sel:DWORD dst_unused:UNUSED_PAD src0_sel:WORD_1 src1_sel:DWORD
	v_fma_f16 v24, v40, v0, -v3
	v_mul_f16_sdwa v43, v42, v8 dst_sel:DWORD dst_unused:UNUSED_PAD src0_sel:WORD_1 src1_sel:DWORD
	v_lshrrev_b32_e32 v3, 16, v2
	v_fmac_f16_e32 v41, v40, v1
	ds_read2_b32 v[0:1], v118 offset0:116 offset1:241
	v_fmac_f16_e32 v50, v47, v10
	v_fma_f16 v22, v42, v8, -v9
	v_lshrrev_b32_e32 v40, 16, v13
	v_fmac_f16_e32 v43, v42, v12
	v_mul_f16_sdwa v8, v32, v3 dst_sel:DWORD dst_unused:UNUSED_PAD src0_sel:WORD_1 src1_sel:DWORD
	v_mul_f16_sdwa v10, v32, v2 dst_sel:DWORD dst_unused:UNUSED_PAD src0_sel:WORD_1 src1_sel:DWORD
	v_lshrrev_b32_e32 v42, 16, v25
	v_mul_f16_sdwa v9, v34, v40 dst_sel:DWORD dst_unused:UNUSED_PAD src0_sel:WORD_1 src1_sel:DWORD
	v_mul_f16_sdwa v47, v17, v127 dst_sel:DWORD dst_unused:UNUSED_PAD src0_sel:WORD_1 src1_sel:DWORD
	v_fmac_f16_e32 v8, v32, v2
	v_mul_f16_sdwa v2, v34, v13 dst_sel:DWORD dst_unused:UNUSED_PAD src0_sel:WORD_1 src1_sel:DWORD
	v_mul_f16_sdwa v11, v35, v42 dst_sel:DWORD dst_unused:UNUSED_PAD src0_sel:WORD_1 src1_sel:DWORD
	v_fma_f16 v10, v32, v3, -v10
	s_waitcnt lgkmcnt(1)
	v_lshrrev_b32_e32 v32, 16, v130
	v_fmac_f16_e32 v9, v34, v13
	v_fma_f16 v12, v34, v40, -v2
	v_fmac_f16_e32 v11, v35, v25
	v_mul_f16_sdwa v25, v35, v25 dst_sel:DWORD dst_unused:UNUSED_PAD src0_sel:WORD_1 src1_sel:DWORD
	v_mul_f16_sdwa v34, v33, v130 dst_sel:DWORD dst_unused:UNUSED_PAD src0_sel:WORD_1 src1_sel:DWORD
	;; [unrolled: 1-line block ×3, first 2 shown]
	v_lshrrev_b32_e32 v40, 16, v127
	ds_read2_b32 v[2:3], v81 offset1:125
	v_fma_f16 v25, v35, v42, -v25
	v_fma_f16 v32, v33, v32, -v34
	v_lshrrev_b32_e32 v34, 16, v131
	v_mul_f16_sdwa v35, v17, v40 dst_sel:DWORD dst_unused:UNUSED_PAD src0_sel:WORD_1 src1_sel:DWORD
	v_fmac_f16_e32 v13, v33, v130
	v_lshrrev_b32_e32 v33, 16, v129
	s_waitcnt lgkmcnt(1)
	v_lshrrev_b32_e32 v42, 16, v1
	v_mul_f16_sdwa v45, v18, v34 dst_sel:DWORD dst_unused:UNUSED_PAD src0_sel:WORD_1 src1_sel:DWORD
	v_fmac_f16_e32 v35, v17, v127
	v_mul_f16_sdwa v128, v16, v1 dst_sel:DWORD dst_unused:UNUSED_PAD src0_sel:WORD_1 src1_sel:DWORD
	v_mul_f16_sdwa v51, v19, v33 dst_sel:DWORD dst_unused:UNUSED_PAD src0_sel:WORD_1 src1_sel:DWORD
	;; [unrolled: 1-line block ×3, first 2 shown]
	v_fmac_f16_e32 v45, v18, v131
	v_mul_f16_sdwa v130, v18, v131 dst_sel:DWORD dst_unused:UNUSED_PAD src0_sel:WORD_1 src1_sel:DWORD
	v_fma_f16 v17, v17, v40, -v47
	v_fmac_f16_e32 v51, v19, v129
	v_fmac_f16_e32 v127, v16, v1
	v_mul_f16_sdwa v1, v19, v129 dst_sel:DWORD dst_unused:UNUSED_PAD src0_sel:WORD_1 src1_sel:DWORD
	v_fma_f16 v16, v16, v42, -v128
	v_fma_f16 v18, v18, v34, -v130
	v_sub_f16_e32 v47, v51, v45
	v_sub_f16_e32 v40, v127, v35
	s_waitcnt lgkmcnt(0)
	v_add_f16_e32 v128, v2, v127
	v_fma_f16 v19, v19, v33, -v1
	v_add_f16_e32 v1, v35, v45
	v_lshrrev_b32_e32 v42, 16, v2
	v_add_f16_e32 v33, v40, v47
	v_add_f16_e32 v47, v128, v35
	v_sub_f16_e32 v131, v19, v18
	v_fma_f16 v128, -0.5, v1, v2
	v_sub_f16_e32 v1, v16, v17
	v_add_f16_e32 v40, v17, v18
	v_add_f16_e32 v47, v47, v45
	;; [unrolled: 1-line block ×3, first 2 shown]
	v_sub_f16_e32 v130, v127, v51
	v_sub_f16_e32 v149, v35, v45
	v_add_f16_e32 v131, v1, v131
	v_add_f16_e32 v1, v47, v51
	;; [unrolled: 1-line block ×3, first 2 shown]
	v_sub_f16_e32 v45, v45, v51
	v_add_f16_e32 v51, v16, v19
	v_sub_f16_e32 v129, v16, v19
	v_fma_f16 v40, -0.5, v40, v42
	v_add_f16_e32 v34, v34, v17
	v_sub_f16_e32 v133, v17, v18
	v_sub_f16_e32 v35, v35, v127
	v_fma_f16 v47, -0.5, v47, v2
	v_fmac_f16_e32 v42, -0.5, v51
	v_fmamk_f16 v132, v129, 0xbb9c, v128
	v_fmamk_f16 v139, v130, 0x3b9c, v40
	v_add_f16_e32 v34, v34, v18
	v_add_f16_e32 v35, v35, v45
	v_fmamk_f16 v45, v133, 0x3b9c, v47
	v_sub_f16_e32 v16, v17, v16
	v_fmac_f16_e32 v47, 0xbb9c, v133
	v_sub_f16_e32 v17, v18, v19
	v_fmamk_f16 v18, v149, 0xbb9c, v42
	v_fmac_f16_e32 v42, 0x3b9c, v149
	v_fmac_f16_e32 v132, 0xb8b4, v133
	;; [unrolled: 1-line block ×5, first 2 shown]
	v_add_f16_e32 v16, v16, v17
	v_fmac_f16_e32 v18, 0x38b4, v130
	v_fmac_f16_e32 v42, 0xb8b4, v130
	v_add_f16_e32 v34, v34, v19
	v_fmac_f16_e32 v132, 0x34f2, v33
	v_fmac_f16_e32 v139, 0x34f2, v131
	;; [unrolled: 1-line block ×6, first 2 shown]
	v_pack_b32_f16 v34, v1, v34
	v_pack_b32_f16 v127, v132, v139
	v_fmac_f16_e32 v128, 0x3b9c, v129
	v_pack_b32_f16 v16, v45, v18
	v_pack_b32_f16 v17, v47, v42
	ds_read2_b32 v[1:2], v104 offset0:122 offset1:247
	s_waitcnt lgkmcnt(0)
	v_fmac_f16_e32 v128, 0x38b4, v133
	s_barrier
	buffer_gl0_inv
	ds_write2_b32 v134, v34, v127 offset1:25
	ds_write2_b32 v134, v16, v17 offset0:50 offset1:75
	v_lshrrev_b32_e32 v16, 16, v3
	v_fmac_f16_e32 v40, 0xbb9c, v130
	v_fmac_f16_e32 v128, 0x34f2, v33
	v_sub_f16_e32 v18, v79, v80
	v_sub_f16_e32 v19, v126, v125
	v_add_f16_e32 v33, v3, v79
	v_add_f16_e32 v34, v16, v77
	v_fmac_f16_e32 v40, 0xb8b4, v149
	v_sub_f16_e32 v35, v77, v78
	v_add_f16_e32 v18, v18, v19
	v_add_f16_e32 v19, v33, v80
	;; [unrolled: 1-line block ×3, first 2 shown]
	v_fmac_f16_e32 v40, 0x34f2, v131
	v_add_f16_e32 v34, v80, v125
	v_add_f16_e32 v129, v79, v126
	;; [unrolled: 1-line block ×4, first 2 shown]
	v_pack_b32_f16 v17, v128, v40
	v_sub_f16_e32 v40, v124, v123
	v_fma_f16 v34, -0.5, v34, v3
	v_add_f16_e32 v19, v19, v126
	v_add_f16_e32 v33, v33, v124
	v_sub_f16_e32 v42, v77, v124
	v_add_f16_e32 v35, v35, v40
	v_add_f16_e32 v40, v78, v123
	v_sub_f16_e32 v45, v79, v126
	v_pack_b32_f16 v19, v19, v33
	v_add_f16_e32 v33, v77, v124
	v_sub_f16_e32 v51, v78, v123
	v_fma_f16 v40, -0.5, v40, v16
	v_sub_f16_e32 v128, v80, v125
	v_fmac_f16_e32 v3, -0.5, v129
	v_fmac_f16_e32 v16, -0.5, v33
	v_fmamk_f16 v47, v42, 0xbb9c, v34
	v_fmamk_f16 v127, v45, 0x3b9c, v40
	v_sub_f16_e32 v79, v80, v79
	v_sub_f16_e32 v80, v125, v126
	;; [unrolled: 1-line block ×3, first 2 shown]
	v_fmamk_f16 v77, v51, 0x3b9c, v3
	v_fmac_f16_e32 v3, 0xbb9c, v51
	v_sub_f16_e32 v78, v123, v124
	v_fmamk_f16 v123, v128, 0xbb9c, v16
	v_fmac_f16_e32 v16, 0x3b9c, v128
	v_fmac_f16_e32 v47, 0xb8b4, v51
	;; [unrolled: 1-line block ×3, first 2 shown]
	v_add_f16_e32 v79, v79, v80
	v_fmac_f16_e32 v3, 0x38b4, v42
	v_add_f16_e32 v33, v33, v78
	v_fmac_f16_e32 v16, 0xb8b4, v45
	v_fmac_f16_e32 v77, 0xb8b4, v42
	;; [unrolled: 1-line block ×9, first 2 shown]
	v_pack_b32_f16 v33, v47, v127
	ds_write_b32 v134, v17 offset:400
	v_pack_b32_f16 v3, v3, v16
	v_fmac_f16_e32 v34, 0x3b9c, v42
	v_pack_b32_f16 v16, v77, v123
	ds_write2_b32 v135, v19, v33 offset1:25
	ds_write2_b32 v135, v16, v3 offset0:50 offset1:75
	v_sub_f16_e32 v3, v23, v49
	v_sub_f16_e32 v16, v50, v48
	v_fmac_f16_e32 v40, 0xbb9c, v45
	v_fmac_f16_e32 v34, 0x38b4, v51
	v_sub_f16_e32 v19, v26, v44
	v_sub_f16_e32 v33, v46, v27
	v_add_f16_e32 v3, v3, v16
	v_add_f16_e32 v16, v1, v23
	v_fmac_f16_e32 v40, 0xb8b4, v128
	v_fmac_f16_e32 v34, 0x34f2, v18
	v_lshrrev_b32_e32 v18, 16, v1
	v_add_f16_e32 v19, v19, v33
	v_add_f16_e32 v16, v16, v49
	v_fmac_f16_e32 v40, 0x34f2, v35
	v_add_f16_e32 v35, v49, v48
	v_add_f16_e32 v33, v44, v27
	v_sub_f16_e32 v42, v23, v50
	v_add_f16_e32 v16, v16, v48
	v_pack_b32_f16 v17, v34, v40
	v_add_f16_e32 v34, v18, v26
	v_add_f16_e32 v77, v23, v50
	v_sub_f16_e32 v78, v49, v48
	v_add_f16_e32 v16, v16, v50
	v_sub_f16_e32 v48, v48, v50
	v_add_f16_e32 v50, v26, v46
	v_fma_f16 v35, -0.5, v35, v1
	v_sub_f16_e32 v40, v26, v46
	v_fma_f16 v33, -0.5, v33, v18
	v_add_f16_e32 v34, v34, v44
	v_sub_f16_e32 v47, v44, v27
	v_fma_f16 v1, -0.5, v77, v1
	v_fmac_f16_e32 v18, -0.5, v50
	v_fmamk_f16 v45, v40, 0xbb9c, v35
	v_fmamk_f16 v51, v42, 0x3b9c, v33
	v_add_f16_e32 v34, v34, v27
	v_sub_f16_e32 v23, v49, v23
	v_fmamk_f16 v49, v47, 0x3b9c, v1
	v_fmac_f16_e32 v1, 0xbb9c, v47
	v_sub_f16_e32 v26, v44, v26
	v_sub_f16_e32 v27, v27, v46
	v_fmamk_f16 v44, v78, 0xbb9c, v18
	v_fmac_f16_e32 v18, 0x3b9c, v78
	v_fmac_f16_e32 v35, 0x3b9c, v40
	;; [unrolled: 1-line block ×5, first 2 shown]
	v_add_f16_e32 v23, v23, v48
	v_fmac_f16_e32 v49, 0xb8b4, v40
	v_fmac_f16_e32 v1, 0x38b4, v40
	v_add_f16_e32 v26, v26, v27
	v_fmac_f16_e32 v44, 0x38b4, v42
	v_fmac_f16_e32 v18, 0xb8b4, v42
	;; [unrolled: 1-line block ×4, first 2 shown]
	v_add_f16_e32 v34, v34, v46
	v_fmac_f16_e32 v45, 0x34f2, v3
	v_fmac_f16_e32 v51, 0x34f2, v19
	;; [unrolled: 1-line block ×8, first 2 shown]
	v_pack_b32_f16 v3, v16, v34
	v_pack_b32_f16 v16, v45, v51
	;; [unrolled: 1-line block ×5, first 2 shown]
	v_sub_f16_e32 v23, v41, v14
	v_sub_f16_e32 v26, v15, v43
	ds_write_b32 v135, v17 offset:400
	ds_write2_b32 v138, v3, v16 offset1:25
	ds_write2_b32 v138, v19, v1 offset0:50 offset1:75
	ds_write_b32 v138, v18 offset:400
	v_lshrrev_b32_e32 v16, 16, v2
	v_sub_f16_e32 v3, v24, v21
	v_add_f16_e32 v17, v14, v43
	v_add_f16_e32 v1, v23, v26
	;; [unrolled: 1-line block ×4, first 2 shown]
	v_sub_f16_e32 v18, v20, v22
	v_add_f16_e32 v19, v21, v22
	v_fma_f16 v17, -0.5, v17, v2
	v_add_f16_e32 v23, v23, v14
	v_add_f16_e32 v26, v26, v21
	v_sub_f16_e32 v27, v24, v20
	v_fma_f16 v19, -0.5, v19, v16
	v_sub_f16_e32 v33, v41, v15
	v_add_f16_e32 v23, v23, v43
	v_add_f16_e32 v3, v3, v18
	;; [unrolled: 1-line block ×5, first 2 shown]
	v_fmamk_f16 v34, v27, 0xbb9c, v17
	v_sub_f16_e32 v35, v21, v22
	v_fmamk_f16 v40, v33, 0x3b9c, v19
	v_sub_f16_e32 v42, v14, v43
	v_add_f16_e32 v23, v23, v15
	v_fmac_f16_e32 v2, -0.5, v26
	v_sub_f16_e32 v14, v14, v41
	v_sub_f16_e32 v15, v43, v15
	v_fmac_f16_e32 v16, -0.5, v44
	v_fmac_f16_e32 v34, 0xb8b4, v35
	v_fmac_f16_e32 v40, 0x38b4, v42
	v_add_f16_e32 v18, v18, v20
	v_sub_f16_e32 v21, v21, v24
	v_fmamk_f16 v24, v35, 0x3b9c, v2
	v_fmac_f16_e32 v2, 0xbb9c, v35
	v_sub_f16_e32 v20, v22, v20
	v_add_f16_e32 v14, v14, v15
	v_fmamk_f16 v15, v42, 0xbb9c, v16
	v_fmac_f16_e32 v16, 0x3b9c, v42
	v_fmac_f16_e32 v17, 0x3b9c, v27
	;; [unrolled: 1-line block ×6, first 2 shown]
	v_add_f16_e32 v20, v21, v20
	v_fmac_f16_e32 v16, 0xb8b4, v33
	v_fmac_f16_e32 v24, 0xb8b4, v27
	;; [unrolled: 1-line block ×5, first 2 shown]
	v_pack_b32_f16 v18, v23, v18
	v_pack_b32_f16 v22, v34, v40
	v_fmac_f16_e32 v2, 0x34f2, v14
	v_fmac_f16_e32 v16, 0x34f2, v20
	;; [unrolled: 1-line block ×6, first 2 shown]
	v_sub_f16_e32 v3, v8, v13
	v_sub_f16_e32 v14, v11, v9
	ds_write2_b32 v136, v18, v22 offset1:25
	v_pack_b32_f16 v1, v2, v16
	v_pack_b32_f16 v2, v24, v15
	;; [unrolled: 1-line block ×3, first 2 shown]
	v_sub_f16_e32 v16, v10, v32
	v_sub_f16_e32 v17, v25, v12
	v_lshrrev_b32_e32 v18, 16, v0
	v_add_f16_e32 v3, v3, v14
	v_add_f16_e32 v14, v0, v8
	v_add_f16_e32 v19, v13, v9
	v_add_f16_e32 v20, v32, v12
	v_add_f16_e32 v16, v16, v17
	v_add_f16_e32 v17, v18, v10
	v_add_f16_e32 v14, v14, v13
	v_add_f16_e32 v33, v8, v11
	v_add_f16_e32 v34, v10, v25
	v_fma_f16 v19, -0.5, v19, v0
	v_sub_f16_e32 v21, v10, v25
	v_fma_f16 v20, -0.5, v20, v18
	v_sub_f16_e32 v22, v8, v11
	v_add_f16_e32 v17, v17, v32
	v_add_f16_e32 v14, v14, v9
	v_sub_f16_e32 v24, v32, v12
	v_sub_f16_e32 v27, v13, v9
	v_fmac_f16_e32 v0, -0.5, v33
	v_fmac_f16_e32 v18, -0.5, v34
	v_fmamk_f16 v23, v21, 0xbb9c, v19
	v_fmamk_f16 v26, v22, 0x3b9c, v20
	v_add_f16_e32 v17, v17, v12
	v_add_f16_e32 v14, v14, v11
	v_sub_f16_e32 v8, v13, v8
	v_sub_f16_e32 v9, v9, v11
	;; [unrolled: 1-line block ×4, first 2 shown]
	v_fmamk_f16 v12, v24, 0x3b9c, v0
	v_fmac_f16_e32 v0, 0xbb9c, v24
	v_fmamk_f16 v13, v27, 0xbb9c, v18
	v_fmac_f16_e32 v18, 0x3b9c, v27
	v_fmac_f16_e32 v19, 0x3b9c, v21
	v_fmac_f16_e32 v20, 0xbb9c, v22
	v_fmac_f16_e32 v23, 0xb8b4, v24
	v_fmac_f16_e32 v26, 0x38b4, v27
	v_add_f16_e32 v8, v8, v9
	v_fmac_f16_e32 v0, 0x38b4, v21
	v_add_f16_e32 v9, v10, v11
	v_fmac_f16_e32 v18, 0xb8b4, v22
	v_fmac_f16_e32 v12, 0xb8b4, v21
	;; [unrolled: 1-line block ×5, first 2 shown]
	v_add_f16_e32 v17, v17, v25
	v_fmac_f16_e32 v23, 0x34f2, v3
	v_fmac_f16_e32 v26, 0x34f2, v16
	v_fmac_f16_e32 v0, 0x34f2, v8
	v_fmac_f16_e32 v18, 0x34f2, v9
	v_fmac_f16_e32 v12, 0x34f2, v8
	v_fmac_f16_e32 v13, 0x34f2, v9
	v_fmac_f16_e32 v19, 0x34f2, v3
	v_fmac_f16_e32 v20, 0x34f2, v16
	v_pack_b32_f16 v3, v14, v17
	v_pack_b32_f16 v8, v23, v26
	v_pack_b32_f16 v0, v0, v18
	v_pack_b32_f16 v9, v12, v13
	v_pack_b32_f16 v10, v19, v20
	ds_write2_b32 v136, v2, v1 offset0:50 offset1:75
	ds_write_b32 v136, v15 offset:400
	ds_write2_b32 v140, v3, v8 offset1:25
	ds_write2_b32 v140, v9, v0 offset0:50 offset1:75
	ds_write_b32 v140, v10 offset:400
	s_waitcnt lgkmcnt(0)
	s_barrier
	buffer_gl0_inv
	ds_read2_b32 v[2:3], v112 offset0:110 offset1:235
	ds_read2_b32 v[0:1], v102 offset0:92 offset1:217
	;; [unrolled: 1-line block ×4, first 2 shown]
	ds_read_b32 v42, v81 offset:12000
	ds_read2_b32 v[40:41], v116 offset0:86 offset1:211
	s_waitcnt lgkmcnt(5)
	v_lshrrev_b32_e32 v10, 16, v3
	v_mul_f16_sdwa v11, v60, v3 dst_sel:DWORD dst_unused:UNUSED_PAD src0_sel:WORD_1 src1_sel:DWORD
	s_waitcnt lgkmcnt(4)
	v_lshrrev_b32_e32 v12, 16, v0
	v_mul_f16_sdwa v13, v61, v0 dst_sel:DWORD dst_unused:UNUSED_PAD src0_sel:WORD_1 src1_sel:DWORD
	;; [unrolled: 3-line block ×3, first 2 shown]
	v_fma_f16 v22, v60, v10, -v11
	ds_read2_b32 v[10:11], v95 offset0:104 offset1:229
	v_fma_f16 v27, v61, v12, -v13
	v_mul_f16_sdwa v33, v61, v12 dst_sel:DWORD dst_unused:UNUSED_PAD src0_sel:WORD_1 src1_sel:DWORD
	ds_read2_b32 v[12:13], v92 offset0:74 offset1:199
	v_lshrrev_b32_e32 v14, 16, v45
	v_mul_f16_sdwa v15, v62, v45 dst_sel:DWORD dst_unused:UNUSED_PAD src0_sel:WORD_1 src1_sel:DWORD
	v_mul_f16_sdwa v35, v63, v16 dst_sel:DWORD dst_unused:UNUSED_PAD src0_sel:WORD_1 src1_sel:DWORD
	v_fmac_f16_e32 v25, v60, v3
	v_lshrrev_b32_e32 v3, 16, v1
	v_mul_f16_sdwa v17, v63, v8 dst_sel:DWORD dst_unused:UNUSED_PAD src0_sel:WORD_1 src1_sel:DWORD
	v_fma_f16 v26, v62, v14, -v15
	v_mul_f16_sdwa v34, v62, v14 dst_sel:DWORD dst_unused:UNUSED_PAD src0_sel:WORD_1 src1_sel:DWORD
	v_fmac_f16_e32 v33, v61, v0
	v_lshrrev_b32_e32 v0, 16, v9
	v_fmac_f16_e32 v35, v63, v8
	v_mul_f16_sdwa v15, v57, v3 dst_sel:DWORD dst_unused:UNUSED_PAD src0_sel:WORD_1 src1_sel:DWORD
	v_mul_f16_sdwa v8, v57, v1 dst_sel:DWORD dst_unused:UNUSED_PAD src0_sel:WORD_1 src1_sel:DWORD
	;; [unrolled: 1-line block ×3, first 2 shown]
	v_fma_f16 v32, v63, v16, -v17
	v_mul_f16_sdwa v16, v59, v0 dst_sel:DWORD dst_unused:UNUSED_PAD src0_sel:WORD_1 src1_sel:DWORD
	v_fmac_f16_e32 v15, v57, v1
	v_fma_f16 v19, v57, v3, -v8
	v_fma_f16 v18, v59, v0, -v14
	s_waitcnt lgkmcnt(0)
	v_lshrrev_b32_e32 v0, 16, v12
	v_lshrrev_b32_e32 v1, 16, v11
	v_mul_f16_sdwa v3, v58, v12 dst_sel:DWORD dst_unused:UNUSED_PAD src0_sel:WORD_1 src1_sel:DWORD
	v_fmac_f16_e32 v34, v62, v45
	v_fmac_f16_e32 v16, v59, v9
	v_mul_f16_sdwa v23, v58, v0 dst_sel:DWORD dst_unused:UNUSED_PAD src0_sel:WORD_1 src1_sel:DWORD
	v_mul_f16_sdwa v9, v52, v1 dst_sel:DWORD dst_unused:UNUSED_PAD src0_sel:WORD_1 src1_sel:DWORD
	v_fma_f16 v21, v58, v0, -v3
	v_mul_f16_sdwa v0, v52, v11 dst_sel:DWORD dst_unused:UNUSED_PAD src0_sel:WORD_1 src1_sel:DWORD
	ds_read2_b32 v[45:46], v117 offset0:98 offset1:223
	v_lshrrev_b32_e32 v17, 16, v10
	v_lshrrev_b32_e32 v14, 16, v13
	v_fmac_f16_e32 v9, v52, v11
	v_lshrrev_b32_e32 v3, 16, v42
	v_fma_f16 v11, v52, v1, -v0
	v_mul_f16_sdwa v0, v55, v42 dst_sel:DWORD dst_unused:UNUSED_PAD src0_sel:WORD_1 src1_sel:DWORD
	v_mul_f16_sdwa v20, v56, v10 dst_sel:DWORD dst_unused:UNUSED_PAD src0_sel:WORD_1 src1_sel:DWORD
	;; [unrolled: 1-line block ×4, first 2 shown]
	v_fmac_f16_e32 v23, v58, v12
	v_lshrrev_b32_e32 v49, 16, v41
	v_fma_f16 v12, v55, v3, -v0
	ds_read2_b32 v[0:1], v118 offset0:116 offset1:241
	ds_read2_b32 v[47:48], v115 offset0:68 offset1:193
	v_fma_f16 v20, v56, v17, -v20
	v_fmac_f16_e32 v24, v56, v10
	v_fmac_f16_e32 v8, v54, v13
	v_mul_f16_sdwa v10, v54, v13 dst_sel:DWORD dst_unused:UNUSED_PAD src0_sel:WORD_1 src1_sel:DWORD
	v_mul_f16_sdwa v13, v55, v3 dst_sel:DWORD dst_unused:UNUSED_PAD src0_sel:WORD_1 src1_sel:DWORD
	v_lshrrev_b32_e32 v17, 16, v40
	v_mul_f16_sdwa v3, v53, v40 dst_sel:DWORD dst_unused:UNUSED_PAD src0_sel:WORD_1 src1_sel:DWORD
	v_mul_f16_sdwa v43, v6, v49 dst_sel:DWORD dst_unused:UNUSED_PAD src0_sel:WORD_1 src1_sel:DWORD
	v_fma_f16 v10, v54, v14, -v10
	v_lshrrev_b32_e32 v50, 16, v2
	v_mul_f16_sdwa v14, v53, v17 dst_sel:DWORD dst_unused:UNUSED_PAD src0_sel:WORD_1 src1_sel:DWORD
	v_fma_f16 v17, v53, v17, -v3
	v_mul_f16_sdwa v3, v6, v41 dst_sel:DWORD dst_unused:UNUSED_PAD src0_sel:WORD_1 src1_sel:DWORD
	v_fmac_f16_e32 v43, v6, v41
	s_waitcnt lgkmcnt(2)
	v_lshrrev_b32_e32 v41, 16, v45
	v_fmac_f16_e32 v13, v55, v42
	v_mul_f16_sdwa v42, v4, v50 dst_sel:DWORD dst_unused:UNUSED_PAD src0_sel:WORD_1 src1_sel:DWORD
	v_fma_f16 v49, v6, v49, -v3
	v_mul_f16_sdwa v3, v5, v45 dst_sel:DWORD dst_unused:UNUSED_PAD src0_sel:WORD_1 src1_sel:DWORD
	v_mul_f16_sdwa v52, v5, v41 dst_sel:DWORD dst_unused:UNUSED_PAD src0_sel:WORD_1 src1_sel:DWORD
	v_fmac_f16_e32 v14, v53, v40
	v_fmac_f16_e32 v42, v4, v2
	v_mul_f16_sdwa v53, v4, v2 dst_sel:DWORD dst_unused:UNUSED_PAD src0_sel:WORD_1 src1_sel:DWORD
	v_fma_f16 v54, v5, v41, -v3
	v_fmac_f16_e32 v52, v5, v45
	s_waitcnt lgkmcnt(1)
	v_lshrrev_b32_e32 v45, 16, v1
	s_waitcnt lgkmcnt(0)
	v_lshrrev_b32_e32 v56, 16, v47
	ds_read2_b32 v[2:3], v81 offset1:125
	v_lshrrev_b32_e32 v59, 16, v48
	v_lshrrev_b32_e32 v51, 16, v46
	v_mul_f16_sdwa v57, v4, v45 dst_sel:DWORD dst_unused:UNUSED_PAD src0_sel:WORD_1 src1_sel:DWORD
	v_mul_f16_sdwa v58, v7, v56 dst_sel:DWORD dst_unused:UNUSED_PAD src0_sel:WORD_1 src1_sel:DWORD
	v_lshrrev_b32_e32 v55, 16, v44
	v_mul_f16_sdwa v60, v7, v59 dst_sel:DWORD dst_unused:UNUSED_PAD src0_sel:WORD_1 src1_sel:DWORD
	v_mul_f16_sdwa v40, v5, v51 dst_sel:DWORD dst_unused:UNUSED_PAD src0_sel:WORD_1 src1_sel:DWORD
	v_fmac_f16_e32 v57, v4, v1
	v_fmac_f16_e32 v58, v7, v47
	v_mul_f16_sdwa v1, v4, v1 dst_sel:DWORD dst_unused:UNUSED_PAD src0_sel:WORD_1 src1_sel:DWORD
	v_mul_f16_sdwa v47, v7, v47 dst_sel:DWORD dst_unused:UNUSED_PAD src0_sel:WORD_1 src1_sel:DWORD
	v_fmac_f16_e32 v60, v7, v48
	v_sub_f16_e32 v61, v57, v52
	v_sub_f16_e32 v62, v58, v43
	v_fma_f16 v1, v4, v45, -v1
	v_mul_f16_sdwa v45, v7, v48 dst_sel:DWORD dst_unused:UNUSED_PAD src0_sel:WORD_1 src1_sel:DWORD
	v_fma_f16 v47, v7, v56, -v47
	v_fmac_f16_e32 v40, v5, v46
	v_add_f16_e32 v48, v61, v62
	s_waitcnt lgkmcnt(0)
	v_lshrrev_b32_e32 v61, 16, v2
	v_add_f16_e32 v78, v2, v57
	v_sub_f16_e32 v56, v1, v54
	v_sub_f16_e32 v63, v47, v49
	v_mul_f16_sdwa v41, v6, v55 dst_sel:DWORD dst_unused:UNUSED_PAD src0_sel:WORD_1 src1_sel:DWORD
	v_add_f16_e32 v79, v61, v1
	v_add_f16_e32 v78, v78, v52
	v_mul_f16_sdwa v46, v5, v46 dst_sel:DWORD dst_unused:UNUSED_PAD src0_sel:WORD_1 src1_sel:DWORD
	v_add_f16_e32 v56, v56, v63
	v_fmac_f16_e32 v41, v6, v44
	v_add_f16_e32 v79, v79, v54
	v_add_f16_e32 v63, v78, v43
	v_mul_f16_sdwa v44, v6, v44 dst_sel:DWORD dst_unused:UNUSED_PAD src0_sel:WORD_1 src1_sel:DWORD
	v_add_f16_e32 v62, v52, v43
	v_fma_f16 v50, v4, v50, -v53
	v_add_f16_e32 v78, v79, v49
	v_add_f16_e32 v4, v63, v58
	v_fma_f16 v46, v5, v51, -v46
	v_add_f16_e32 v51, v57, v58
	v_add_f16_e32 v77, v54, v49
	;; [unrolled: 1-line block ×3, first 2 shown]
	v_fma_f16 v62, -0.5, v62, v2
	v_sub_f16_e32 v125, v54, v49
	v_fma_f16 v6, v6, v55, -v44
	v_fma_f16 v2, -0.5, v51, v2
	v_pack_b32_f16 v44, v4, v53
	v_add_f16_e32 v53, v1, v47
	v_sub_f16_e32 v80, v1, v47
	v_fma_f16 v77, -0.5, v77, v61
	v_sub_f16_e32 v127, v52, v43
	v_sub_f16_e32 v52, v52, v57
	;; [unrolled: 1-line block ×3, first 2 shown]
	v_fmac_f16_e32 v61, -0.5, v53
	v_fmamk_f16 v51, v125, 0x3b9c, v2
	v_fmac_f16_e32 v2, 0xbb9c, v125
	v_sub_f16_e32 v1, v54, v1
	v_sub_f16_e32 v47, v49, v47
	;; [unrolled: 1-line block ×3, first 2 shown]
	v_add_f16_e32 v43, v52, v43
	v_fmamk_f16 v49, v127, 0xbb9c, v61
	v_fmac_f16_e32 v51, 0xb8b4, v80
	v_fmac_f16_e32 v2, 0x38b4, v80
	;; [unrolled: 1-line block ×3, first 2 shown]
	v_add_f16_e32 v1, v1, v47
	v_lshrrev_b32_e32 v47, 16, v3
	v_fmamk_f16 v124, v80, 0xbb9c, v62
	v_fmamk_f16 v126, v123, 0x3b9c, v77
	v_fmac_f16_e32 v49, 0x38b4, v123
	v_fmac_f16_e32 v51, 0x34f2, v43
	;; [unrolled: 1-line block ×4, first 2 shown]
	v_add_f16_e32 v43, v3, v42
	v_add_f16_e32 v52, v47, v50
	v_fmac_f16_e32 v124, 0xb8b4, v125
	v_fmac_f16_e32 v126, 0x38b4, v127
	;; [unrolled: 1-line block ×6, first 2 shown]
	v_add_f16_e32 v1, v43, v40
	v_add_f16_e32 v43, v52, v46
	v_fmac_f16_e32 v124, 0x34f2, v48
	v_fmac_f16_e32 v126, 0x34f2, v56
	v_fma_f16 v7, v7, v59, -v45
	v_fmac_f16_e32 v62, 0x38b4, v125
	v_fmac_f16_e32 v77, 0xb8b4, v127
	v_add_f16_e32 v1, v1, v41
	v_add_f16_e32 v43, v43, v6
	v_pack_b32_f16 v45, v124, v126
	v_fmac_f16_e32 v62, 0x34f2, v48
	v_fmac_f16_e32 v77, 0x34f2, v56
	v_add_f16_e32 v1, v1, v60
	v_add_f16_e32 v43, v43, v7
	v_pack_b32_f16 v49, v51, v49
	v_pack_b32_f16 v2, v2, v61
	ds_read2_b32 v[4:5], v104 offset0:122 offset1:247
	s_waitcnt lgkmcnt(0)
	s_barrier
	buffer_gl0_inv
	ds_write2_b32 v81, v44, v45 offset1:125
	ds_write2_b32 v104, v49, v2 offset0:122 offset1:247
	v_pack_b32_f16 v2, v62, v77
	v_pack_b32_f16 v1, v1, v43
	v_add_f16_e32 v45, v40, v41
	v_sub_f16_e32 v43, v42, v40
	v_sub_f16_e32 v44, v60, v41
	v_add_f16_e32 v48, v42, v60
	v_sub_f16_e32 v49, v40, v42
	v_sub_f16_e32 v51, v41, v60
	ds_write2_b32 v118, v2, v1 offset0:116 offset1:241
	v_fma_f16 v2, -0.5, v45, v3
	v_add_f16_e32 v45, v46, v6
	v_add_f16_e32 v1, v43, v44
	v_fmac_f16_e32 v3, -0.5, v48
	v_add_f16_e32 v43, v49, v51
	v_sub_f16_e32 v44, v46, v6
	v_sub_f16_e32 v48, v50, v46
	;; [unrolled: 1-line block ×4, first 2 shown]
	v_add_f16_e32 v50, v50, v7
	v_sub_f16_e32 v42, v42, v60
	v_fma_f16 v45, -0.5, v45, v47
	v_sub_f16_e32 v51, v7, v6
	v_sub_f16_e32 v6, v6, v7
	v_sub_f16_e32 v7, v40, v41
	v_fmac_f16_e32 v47, -0.5, v50
	v_fmamk_f16 v52, v49, 0xbb9c, v2
	v_fmamk_f16 v40, v42, 0x3b9c, v45
	v_fmac_f16_e32 v2, 0x3b9c, v49
	v_fmac_f16_e32 v45, 0xbb9c, v42
	v_add_f16_e32 v41, v48, v51
	v_add_f16_e32 v6, v46, v6
	v_fmamk_f16 v46, v44, 0x3b9c, v3
	v_fmamk_f16 v48, v7, 0xbb9c, v47
	v_fmac_f16_e32 v52, 0xb8b4, v44
	v_fmac_f16_e32 v40, 0x38b4, v7
	;; [unrolled: 1-line block ×12, first 2 shown]
	v_lshrrev_b32_e32 v1, 16, v4
	v_fmac_f16_e32 v45, 0x34f2, v41
	v_add_f16_e32 v41, v4, v25
	v_fmac_f16_e32 v47, 0xb8b4, v42
	v_fmac_f16_e32 v46, 0x34f2, v43
	;; [unrolled: 1-line block ×4, first 2 shown]
	v_add_f16_e32 v43, v1, v22
	v_add_f16_e32 v41, v41, v33
	v_fmac_f16_e32 v47, 0x34f2, v6
	v_pack_b32_f16 v6, v52, v40
	v_pack_b32_f16 v40, v46, v48
	v_sub_f16_e32 v7, v25, v33
	v_sub_f16_e32 v42, v35, v34
	v_add_f16_e32 v44, v33, v34
	v_add_f16_e32 v48, v27, v26
	;; [unrolled: 1-line block ×4, first 2 shown]
	v_sub_f16_e32 v51, v25, v35
	v_sub_f16_e32 v52, v33, v34
	v_add_f16_e32 v53, v25, v35
	v_sub_f16_e32 v25, v33, v25
	v_sub_f16_e32 v33, v34, v35
	v_add_f16_e32 v34, v22, v32
	v_pack_b32_f16 v3, v3, v47
	v_add_f16_e32 v7, v7, v42
	v_sub_f16_e32 v42, v22, v27
	v_fma_f16 v44, -0.5, v44, v4
	v_sub_f16_e32 v46, v22, v32
	v_sub_f16_e32 v47, v32, v26
	v_fma_f16 v48, -0.5, v48, v1
	v_add_f16_e32 v43, v43, v26
	v_sub_f16_e32 v50, v27, v26
	v_fma_f16 v4, -0.5, v53, v4
	v_fmac_f16_e32 v1, -0.5, v34
	v_fmamk_f16 v49, v46, 0xbb9c, v44
	v_add_f16_e32 v42, v42, v47
	v_fmamk_f16 v47, v51, 0x3b9c, v48
	v_add_f16_e32 v43, v43, v32
	v_sub_f16_e32 v22, v27, v22
	v_fmamk_f16 v27, v50, 0x3b9c, v4
	v_fmac_f16_e32 v4, 0xbb9c, v50
	v_sub_f16_e32 v26, v26, v32
	v_fmamk_f16 v32, v52, 0xbb9c, v1
	v_fmac_f16_e32 v1, 0x3b9c, v52
	v_fmac_f16_e32 v49, 0xb8b4, v50
	;; [unrolled: 1-line block ×3, first 2 shown]
	v_add_f16_e32 v25, v25, v33
	v_fmac_f16_e32 v27, 0xb8b4, v46
	v_fmac_f16_e32 v4, 0x38b4, v46
	v_add_f16_e32 v22, v22, v26
	v_fmac_f16_e32 v32, 0x38b4, v51
	v_fmac_f16_e32 v1, 0xb8b4, v51
	;; [unrolled: 3-line block ×3, first 2 shown]
	v_fmac_f16_e32 v27, 0x34f2, v25
	v_fmac_f16_e32 v4, 0x34f2, v25
	;; [unrolled: 1-line block ×4, first 2 shown]
	v_pack_b32_f16 v2, v2, v45
	v_pack_b32_f16 v22, v41, v43
	v_pack_b32_f16 v25, v49, v47
	v_pack_b32_f16 v26, v27, v32
	v_pack_b32_f16 v1, v4, v1
	ds_write2_b32 v112, v6, v40 offset0:110 offset1:235
	v_fmac_f16_e32 v44, 0x3b9c, v46
	ds_write2_b32 v95, v3, v2 offset0:104 offset1:229
	ds_write2_b32 v143, v22, v25 offset0:98 offset1:223
	ds_write2_b32 v146, v26, v1 offset0:92 offset1:217
	v_add_f16_e32 v1, v15, v23
	v_sub_f16_e32 v2, v24, v15
	v_sub_f16_e32 v3, v16, v23
	v_fmac_f16_e32 v44, 0x38b4, v50
	v_sub_f16_e32 v4, v20, v18
	v_fma_f16 v1, -0.5, v1, v5
	v_lshrrev_b32_e32 v22, 16, v5
	v_add_f16_e32 v2, v2, v3
	v_add_f16_e32 v3, v24, v16
	v_fmac_f16_e32 v44, 0x34f2, v7
	v_fmamk_f16 v6, v4, 0xbb9c, v1
	v_sub_f16_e32 v7, v19, v21
	v_add_f16_e32 v25, v5, v24
	v_fmac_f16_e32 v5, -0.5, v3
	v_fmac_f16_e32 v1, 0x3b9c, v4
	v_sub_f16_e32 v3, v15, v24
	v_fmac_f16_e32 v6, 0xb8b4, v7
	v_sub_f16_e32 v26, v23, v16
	v_fmamk_f16 v27, v7, 0x3b9c, v5
	v_fmac_f16_e32 v5, 0xbb9c, v7
	v_fmac_f16_e32 v1, 0x38b4, v7
	v_add_f16_e32 v7, v25, v15
	v_add_f16_e32 v3, v3, v26
	v_fmac_f16_e32 v27, 0xb8b4, v4
	v_fmac_f16_e32 v5, 0x38b4, v4
	;; [unrolled: 1-line block ×3, first 2 shown]
	v_add_f16_e32 v4, v7, v23
	v_fmac_f16_e32 v1, 0x34f2, v2
	v_fmac_f16_e32 v27, 0x34f2, v3
	;; [unrolled: 1-line block ×3, first 2 shown]
	v_add_f16_e32 v3, v22, v20
	v_add_f16_e32 v2, v4, v16
	;; [unrolled: 1-line block ×3, first 2 shown]
	v_sub_f16_e32 v7, v24, v16
	v_sub_f16_e32 v16, v20, v19
	;; [unrolled: 1-line block ×3, first 2 shown]
	v_add_f16_e32 v3, v3, v19
	v_fma_f16 v4, -0.5, v4, v22
	v_sub_f16_e32 v15, v15, v23
	v_add_f16_e32 v23, v20, v18
	v_add_f16_e32 v16, v16, v24
	;; [unrolled: 1-line block ×3, first 2 shown]
	v_fmamk_f16 v24, v7, 0x3b9c, v4
	v_fmac_f16_e32 v4, 0xbb9c, v7
	v_fmac_f16_e32 v22, -0.5, v23
	v_sub_f16_e32 v19, v19, v20
	v_add_f16_e32 v3, v3, v18
	v_fmac_f16_e32 v24, 0x38b4, v15
	v_fmac_f16_e32 v4, 0xb8b4, v15
	v_sub_f16_e32 v18, v21, v18
	v_fmamk_f16 v20, v15, 0xbb9c, v22
	v_fmac_f16_e32 v22, 0x3b9c, v15
	v_fmac_f16_e32 v24, 0x34f2, v16
	;; [unrolled: 1-line block ×3, first 2 shown]
	v_sub_f16_e32 v15, v9, v14
	v_sub_f16_e32 v16, v13, v8
	v_add_f16_e32 v18, v19, v18
	v_add_f16_e32 v19, v14, v8
	v_fmac_f16_e32 v20, 0x38b4, v7
	v_fmac_f16_e32 v22, 0xb8b4, v7
	v_add_f16_e32 v7, v15, v16
	v_add_f16_e32 v15, v9, v13
	v_fma_f16 v16, -0.5, v19, v0
	v_sub_f16_e32 v19, v11, v12
	v_lshrrev_b32_e32 v21, 16, v0
	v_add_f16_e32 v23, v0, v9
	v_fmac_f16_e32 v0, -0.5, v15
	v_sub_f16_e32 v15, v17, v10
	v_fmamk_f16 v25, v19, 0xbb9c, v16
	v_fmac_f16_e32 v16, 0x3b9c, v19
	v_sub_f16_e32 v26, v14, v9
	v_sub_f16_e32 v32, v8, v13
	v_fmamk_f16 v33, v15, 0x3b9c, v0
	v_fmac_f16_e32 v0, 0xbb9c, v15
	v_add_f16_e32 v23, v23, v14
	v_fmac_f16_e32 v25, 0xb8b4, v15
	v_fmac_f16_e32 v16, 0x38b4, v15
	v_add_f16_e32 v15, v26, v32
	v_fmac_f16_e32 v33, 0xb8b4, v19
	v_fmac_f16_e32 v0, 0x38b4, v19
	;; [unrolled: 1-line block ×4, first 2 shown]
	v_add_f16_e32 v18, v23, v8
	v_fmac_f16_e32 v25, 0x34f2, v7
	v_fmac_f16_e32 v16, 0x34f2, v7
	v_add_f16_e32 v7, v21, v11
	v_fmac_f16_e32 v33, 0x34f2, v15
	v_fmac_f16_e32 v0, 0x34f2, v15
	v_add_f16_e32 v15, v18, v13
	v_add_f16_e32 v18, v17, v10
	;; [unrolled: 1-line block ×4, first 2 shown]
	v_fmac_f16_e32 v48, 0xbb9c, v51
	v_sub_f16_e32 v9, v9, v13
	v_sub_f16_e32 v8, v14, v8
	v_fma_f16 v14, -0.5, v18, v21
	v_add_f16_e32 v7, v7, v10
	v_fmac_f16_e32 v21, -0.5, v23
	v_fmac_f16_e32 v48, 0xb8b4, v52
	v_sub_f16_e32 v13, v11, v17
	v_sub_f16_e32 v19, v12, v10
	;; [unrolled: 1-line block ×3, first 2 shown]
	v_fmamk_f16 v17, v9, 0x3b9c, v14
	v_add_f16_e32 v7, v7, v12
	v_fmac_f16_e32 v14, 0xbb9c, v9
	v_sub_f16_e32 v10, v10, v12
	v_fmamk_f16 v12, v8, 0xbb9c, v21
	v_fmac_f16_e32 v21, 0x3b9c, v8
	v_fmac_f16_e32 v48, 0x34f2, v42
	v_add_f16_e32 v13, v13, v19
	v_fmac_f16_e32 v17, 0x38b4, v8
	v_fmac_f16_e32 v14, 0xb8b4, v8
	v_add_f16_e32 v8, v11, v10
	v_fmac_f16_e32 v12, 0x38b4, v9
	v_fmac_f16_e32 v21, 0xb8b4, v9
	v_pack_b32_f16 v9, v44, v48
	v_pack_b32_f16 v2, v2, v3
	v_pack_b32_f16 v3, v6, v24
	v_fmac_f16_e32 v17, 0x34f2, v13
	v_fmac_f16_e32 v12, 0x34f2, v8
	;; [unrolled: 1-line block ×4, first 2 shown]
	ds_write_b32 v137, v9 offset:7000
	ds_write2_b32 v142, v2, v3 offset0:83 offset1:208
	v_pack_b32_f16 v2, v27, v20
	v_pack_b32_f16 v3, v5, v22
	;; [unrolled: 1-line block ×8, first 2 shown]
	ds_write2_b32 v144, v2, v3 offset0:77 offset1:202
	ds_write_b32 v141, v1 offset:9500
	ds_write2_b32 v147, v4, v5 offset0:68 offset1:193
	ds_write2_b32 v148, v6, v0 offset0:62 offset1:187
	ds_write_b32 v145, v7 offset:12000
	s_waitcnt lgkmcnt(0)
	s_barrier
	buffer_gl0_inv
	ds_read2_b32 v[0:1], v112 offset0:110 offset1:235
	ds_read2_b32 v[11:12], v117 offset0:98 offset1:223
	;; [unrolled: 1-line block ×8, first 2 shown]
	s_waitcnt lgkmcnt(7)
	v_lshrrev_b32_e32 v10, 16, v0
	v_mul_f16_sdwa v22, v36, v0 dst_sel:DWORD dst_unused:UNUSED_PAD src0_sel:WORD_1 src1_sel:DWORD
	s_waitcnt lgkmcnt(5)
	v_lshrrev_b32_e32 v16, 16, v2
	v_lshrrev_b32_e32 v15, 16, v12
	;; [unrolled: 1-line block ×3, first 2 shown]
	v_mul_f16_sdwa v41, v36, v10 dst_sel:DWORD dst_unused:UNUSED_PAD src0_sel:WORD_1 src1_sel:DWORD
	v_mul_f16_sdwa v24, v37, v12 dst_sel:DWORD dst_unused:UNUSED_PAD src0_sel:WORD_1 src1_sel:DWORD
	s_waitcnt lgkmcnt(3)
	v_lshrrev_b32_e32 v19, 16, v4
	v_lshrrev_b32_e32 v23, 16, v5
	v_mul_f16_sdwa v44, v37, v15 dst_sel:DWORD dst_unused:UNUSED_PAD src0_sel:WORD_1 src1_sel:DWORD
	v_fmac_f16_e32 v41, v36, v0
	v_mul_f16_sdwa v0, v38, v2 dst_sel:DWORD dst_unused:UNUSED_PAD src0_sel:WORD_1 src1_sel:DWORD
	v_fma_f16 v45, v37, v15, -v24
	v_mul_f16_sdwa v46, v38, v16 dst_sel:DWORD dst_unused:UNUSED_PAD src0_sel:WORD_1 src1_sel:DWORD
	ds_read2_b32 v[24:25], v92 offset0:74 offset1:199
	v_lshrrev_b32_e32 v17, 16, v14
	v_fma_f16 v47, v38, v16, -v0
	v_mul_f16_sdwa v0, v64, v1 dst_sel:DWORD dst_unused:UNUSED_PAD src0_sel:WORD_1 src1_sel:DWORD
	v_lshrrev_b32_e32 v20, 16, v3
	s_waitcnt lgkmcnt(3)
	v_lshrrev_b32_e32 v21, 16, v6
	v_fmac_f16_e32 v44, v37, v12
	v_mul_f16_sdwa v33, v64, v18 dst_sel:DWORD dst_unused:UNUSED_PAD src0_sel:WORD_1 src1_sel:DWORD
	v_fma_f16 v32, v64, v18, -v0
	v_mul_f16_sdwa v0, v65, v4 dst_sel:DWORD dst_unused:UNUSED_PAD src0_sel:WORD_1 src1_sel:DWORD
	v_fmac_f16_e32 v46, v38, v2
	v_mul_f16_sdwa v37, v65, v19 dst_sel:DWORD dst_unused:UNUSED_PAD src0_sel:WORD_1 src1_sel:DWORD
	v_mul_f16_sdwa v2, v66, v3 dst_sel:DWORD dst_unused:UNUSED_PAD src0_sel:WORD_1 src1_sel:DWORD
	;; [unrolled: 1-line block ×3, first 2 shown]
	v_fma_f16 v34, v65, v19, -v0
	v_mul_f16_sdwa v0, v67, v6 dst_sel:DWORD dst_unused:UNUSED_PAD src0_sel:WORD_1 src1_sel:DWORD
	ds_read_b32 v12, v81 offset:12000
	v_fma_f16 v43, v36, v10, -v22
	v_mul_f16_sdwa v10, v39, v14 dst_sel:DWORD dst_unused:UNUSED_PAD src0_sel:WORD_1 src1_sel:DWORD
	v_mul_f16_sdwa v42, v39, v17 dst_sel:DWORD dst_unused:UNUSED_PAD src0_sel:WORD_1 src1_sel:DWORD
	v_fmac_f16_e32 v33, v64, v1
	v_lshrrev_b32_e32 v1, 16, v7
	v_fmac_f16_e32 v37, v65, v4
	v_fma_f16 v35, v66, v20, -v2
	v_fma_f16 v38, v67, v21, -v0
	s_waitcnt lgkmcnt(3)
	v_lshrrev_b32_e32 v0, 16, v8
	v_mul_f16_sdwa v2, v69, v5 dst_sel:DWORD dst_unused:UNUSED_PAD src0_sel:WORD_1 src1_sel:DWORD
	v_fmac_f16_e32 v15, v69, v5
	v_mul_f16_sdwa v4, v68, v8 dst_sel:DWORD dst_unused:UNUSED_PAD src0_sel:WORD_1 src1_sel:DWORD
	v_mul_f16_sdwa v5, v71, v7 dst_sel:DWORD dst_unused:UNUSED_PAD src0_sel:WORD_1 src1_sel:DWORD
	v_fma_f16 v48, v39, v17, -v10
	v_fmac_f16_e32 v42, v39, v14
	v_mul_f16_sdwa v36, v66, v20 dst_sel:DWORD dst_unused:UNUSED_PAD src0_sel:WORD_1 src1_sel:DWORD
	v_mul_f16_sdwa v39, v67, v21 dst_sel:DWORD dst_unused:UNUSED_PAD src0_sel:WORD_1 src1_sel:DWORD
	;; [unrolled: 1-line block ×3, first 2 shown]
	v_fma_f16 v16, v69, v23, -v2
	v_fma_f16 v17, v68, v0, -v4
	v_mul_f16_sdwa v23, v68, v0 dst_sel:DWORD dst_unused:UNUSED_PAD src0_sel:WORD_1 src1_sel:DWORD
	v_fma_f16 v20, v71, v1, -v5
	ds_read2_b32 v[0:1], v118 offset0:116 offset1:241
	v_fmac_f16_e32 v36, v66, v3
	v_fmac_f16_e32 v39, v67, v6
	s_waitcnt lgkmcnt(2)
	v_lshrrev_b32_e32 v3, 16, v24
	v_mul_f16_sdwa v2, v70, v24 dst_sel:DWORD dst_unused:UNUSED_PAD src0_sel:WORD_1 src1_sel:DWORD
	v_lshrrev_b32_e32 v6, 16, v9
	v_fmac_f16_e32 v19, v71, v7
	v_fmac_f16_e32 v23, v68, v8
	v_mul_f16_sdwa v22, v70, v3 dst_sel:DWORD dst_unused:UNUSED_PAD src0_sel:WORD_1 src1_sel:DWORD
	v_fma_f16 v18, v70, v3, -v2
	v_lshrrev_b32_e32 v2, 16, v25
	v_mul_f16_sdwa v5, v72, v6 dst_sel:DWORD dst_unused:UNUSED_PAD src0_sel:WORD_1 src1_sel:DWORD
	v_lshrrev_b32_e32 v3, 16, v26
	v_mul_f16_sdwa v7, v72, v9 dst_sel:DWORD dst_unused:UNUSED_PAD src0_sel:WORD_1 src1_sel:DWORD
	s_waitcnt lgkmcnt(1)
	v_lshrrev_b32_e32 v14, 16, v12
	v_mul_f16_sdwa v8, v73, v26 dst_sel:DWORD dst_unused:UNUSED_PAD src0_sel:WORD_1 src1_sel:DWORD
	v_mul_f16_sdwa v21, v74, v25 dst_sel:DWORD dst_unused:UNUSED_PAD src0_sel:WORD_1 src1_sel:DWORD
	v_fmac_f16_e32 v22, v70, v24
	v_mul_f16_sdwa v4, v74, v2 dst_sel:DWORD dst_unused:UNUSED_PAD src0_sel:WORD_1 src1_sel:DWORD
	v_fmac_f16_e32 v5, v72, v9
	v_fma_f16 v7, v72, v6, -v7
	v_lshrrev_b32_e32 v24, 16, v11
	v_mul_f16_sdwa v10, v75, v14 dst_sel:DWORD dst_unused:UNUSED_PAD src0_sel:WORD_1 src1_sel:DWORD
	v_fma_f16 v8, v73, v3, -v8
	v_mul_f16_sdwa v9, v73, v3 dst_sel:DWORD dst_unused:UNUSED_PAD src0_sel:WORD_1 src1_sel:DWORD
	v_fma_f16 v6, v74, v2, -v21
	v_lshrrev_b32_e32 v21, 16, v27
	ds_read2_b32 v[2:3], v81 offset1:125
	v_fmac_f16_e32 v4, v74, v25
	v_mul_f16_sdwa v25, v29, v24 dst_sel:DWORD dst_unused:UNUSED_PAD src0_sel:WORD_1 src1_sel:DWORD
	v_mul_f16_sdwa v40, v75, v12 dst_sel:DWORD dst_unused:UNUSED_PAD src0_sel:WORD_1 src1_sel:DWORD
	v_fmac_f16_e32 v10, v75, v12
	v_fmac_f16_e32 v9, v73, v26
	v_mul_f16_sdwa v26, v30, v21 dst_sel:DWORD dst_unused:UNUSED_PAD src0_sel:WORD_1 src1_sel:DWORD
	v_lshrrev_b32_e32 v12, 16, v13
	s_waitcnt lgkmcnt(1)
	v_lshrrev_b32_e32 v50, 16, v1
	v_fmac_f16_e32 v25, v29, v11
	v_mul_f16_sdwa v49, v31, v13 dst_sel:DWORD dst_unused:UNUSED_PAD src0_sel:WORD_1 src1_sel:DWORD
	v_fmac_f16_e32 v26, v30, v27
	v_mul_f16_sdwa v51, v28, v1 dst_sel:DWORD dst_unused:UNUSED_PAD src0_sel:WORD_1 src1_sel:DWORD
	v_mul_f16_sdwa v52, v31, v12 dst_sel:DWORD dst_unused:UNUSED_PAD src0_sel:WORD_1 src1_sel:DWORD
	;; [unrolled: 1-line block ×4, first 2 shown]
	v_fma_f16 v49, v31, v12, -v49
	v_add_f16_e32 v12, v25, v26
	v_fma_f16 v50, v28, v50, -v51
	v_mul_f16_sdwa v27, v30, v27 dst_sel:DWORD dst_unused:UNUSED_PAD src0_sel:WORD_1 src1_sel:DWORD
	v_fmac_f16_e32 v52, v31, v13
	v_fmac_f16_e32 v53, v28, v1
	s_waitcnt lgkmcnt(0)
	v_fma_f16 v1, -0.5, v12, v2
	v_sub_f16_e32 v28, v50, v49
	v_fma_f16 v29, v29, v24, -v11
	v_fma_f16 v27, v30, v21, -v27
	v_sub_f16_e32 v12, v53, v25
	v_sub_f16_e32 v21, v52, v26
	v_add_f16_e32 v24, v53, v52
	v_fmamk_f16 v11, v28, 0xbb9c, v1
	v_sub_f16_e32 v30, v29, v27
	v_fmac_f16_e32 v1, 0x3b9c, v28
	v_add_f16_e32 v21, v12, v21
	v_fma_f16 v12, -0.5, v24, v2
	v_add_f16_e32 v31, v2, v53
	v_fma_f16 v13, v75, v14, -v40
	v_fmac_f16_e32 v11, 0xb8b4, v30
	v_sub_f16_e32 v24, v25, v53
	v_sub_f16_e32 v40, v26, v52
	v_fmamk_f16 v14, v30, 0x3b9c, v12
	v_fmac_f16_e32 v12, 0xbb9c, v30
	v_fmac_f16_e32 v1, 0x38b4, v30
	v_add_f16_e32 v30, v31, v25
	v_add_f16_e32 v24, v24, v40
	v_fmac_f16_e32 v14, 0xb8b4, v28
	v_fmac_f16_e32 v12, 0x38b4, v28
	v_lshrrev_b32_e32 v2, 16, v2
	v_add_f16_e32 v28, v30, v26
	v_fmac_f16_e32 v11, 0x34f2, v21
	v_fmac_f16_e32 v1, 0x34f2, v21
	;; [unrolled: 1-line block ×4, first 2 shown]
	v_add_f16_e32 v21, v28, v52
	v_add_f16_e32 v24, v2, v50
	;; [unrolled: 1-line block ×3, first 2 shown]
	v_sub_f16_e32 v30, v53, v52
	v_sub_f16_e32 v31, v50, v29
	;; [unrolled: 1-line block ×3, first 2 shown]
	v_add_f16_e32 v51, v24, v29
	v_fma_f16 v24, -0.5, v28, v2
	v_sub_f16_e32 v28, v25, v26
	v_add_f16_e32 v26, v50, v49
	v_add_f16_e32 v31, v31, v40
	;; [unrolled: 1-line block ×3, first 2 shown]
	v_fmamk_f16 v25, v30, 0x3b9c, v24
	v_fmac_f16_e32 v24, 0xbb9c, v30
	v_fmac_f16_e32 v2, -0.5, v26
	v_sub_f16_e32 v29, v29, v50
	v_add_f16_e32 v26, v40, v49
	v_fmac_f16_e32 v25, 0x38b4, v28
	v_fmac_f16_e32 v24, 0xb8b4, v28
	v_sub_f16_e32 v40, v27, v49
	v_fmamk_f16 v27, v28, 0xbb9c, v2
	v_fmac_f16_e32 v2, 0x3b9c, v28
	v_fmac_f16_e32 v25, 0x34f2, v31
	;; [unrolled: 1-line block ×3, first 2 shown]
	v_add_f16_e32 v40, v29, v40
	v_sub_f16_e32 v29, v41, v44
	v_sub_f16_e32 v31, v42, v46
	v_add_f16_e32 v28, v44, v46
	v_sub_f16_e32 v49, v43, v48
	v_add_f16_e32 v51, v3, v41
	;; [unrolled: 2-line block ×3, first 2 shown]
	v_add_f16_e32 v31, v41, v42
	v_fma_f16 v28, -0.5, v28, v3
	v_lshrrev_b32_e32 v29, 16, v3
	v_fmac_f16_e32 v27, 0x38b4, v30
	v_fmac_f16_e32 v2, 0xb8b4, v30
	v_fmac_f16_e32 v3, -0.5, v31
	v_fmamk_f16 v30, v49, 0xbb9c, v28
	v_fmac_f16_e32 v28, 0x3b9c, v49
	v_sub_f16_e32 v53, v44, v41
	v_sub_f16_e32 v54, v46, v42
	v_fmamk_f16 v31, v52, 0x3b9c, v3
	v_fmac_f16_e32 v3, 0xbb9c, v52
	v_add_f16_e32 v51, v51, v44
	v_fmac_f16_e32 v30, 0xb8b4, v52
	v_fmac_f16_e32 v28, 0x38b4, v52
	v_add_f16_e32 v52, v53, v54
	v_fmac_f16_e32 v31, 0xb8b4, v49
	v_fmac_f16_e32 v3, 0x38b4, v49
	;; [unrolled: 1-line block ×4, first 2 shown]
	v_add_f16_e32 v40, v51, v46
	v_fmac_f16_e32 v30, 0x34f2, v50
	v_fmac_f16_e32 v28, 0x34f2, v50
	;; [unrolled: 1-line block ×4, first 2 shown]
	v_add_f16_e32 v40, v40, v42
	v_add_f16_e32 v49, v29, v43
	v_sub_f16_e32 v50, v41, v42
	v_add_f16_e32 v52, v45, v47
	ds_read2_b32 v[41:42], v104 offset0:122 offset1:247
	v_sub_f16_e32 v51, v43, v45
	v_sub_f16_e32 v53, v48, v47
	v_add_f16_e32 v49, v49, v45
	v_fma_f16 v52, -0.5, v52, v29
	v_add_f16_e32 v54, v43, v48
	v_sub_f16_e32 v44, v44, v46
	v_add_f16_e32 v46, v51, v53
	v_add_f16_e32 v49, v49, v47
	v_fmamk_f16 v51, v50, 0x3b9c, v52
	v_fmac_f16_e32 v52, 0xbb9c, v50
	v_fmac_f16_e32 v29, -0.5, v54
	v_sub_f16_e32 v43, v45, v43
	v_add_f16_e32 v45, v49, v48
	v_sub_f16_e32 v47, v47, v48
	v_fmac_f16_e32 v51, 0x38b4, v44
	v_fmac_f16_e32 v52, 0xb8b4, v44
	v_add_f16_e32 v49, v37, v36
	v_fmamk_f16 v48, v44, 0xbb9c, v29
	v_fmac_f16_e32 v29, 0x3b9c, v44
	v_fmac_f16_e32 v51, 0x34f2, v46
	;; [unrolled: 1-line block ×3, first 2 shown]
	v_add_f16_e32 v43, v43, v47
	s_waitcnt lgkmcnt(0)
	v_fma_f16 v44, -0.5, v49, v41
	v_sub_f16_e32 v46, v32, v38
	v_sub_f16_e32 v47, v33, v37
	;; [unrolled: 1-line block ×3, first 2 shown]
	v_add_f16_e32 v53, v33, v39
	v_fmac_f16_e32 v48, 0x38b4, v50
	v_fmamk_f16 v54, v46, 0xbb9c, v44
	v_sub_f16_e32 v55, v34, v35
	v_fmac_f16_e32 v29, 0xb8b4, v50
	v_add_f16_e32 v47, v47, v49
	v_fma_f16 v49, -0.5, v53, v41
	v_fmac_f16_e32 v44, 0x3b9c, v46
	v_sub_f16_e32 v50, v37, v33
	v_sub_f16_e32 v53, v36, v39
	v_add_f16_e32 v57, v41, v33
	v_fmac_f16_e32 v54, 0xb8b4, v55
	v_fmamk_f16 v56, v55, 0x3b9c, v49
	v_fmac_f16_e32 v49, 0xbb9c, v55
	v_fmac_f16_e32 v44, 0x38b4, v55
	v_add_f16_e32 v50, v50, v53
	v_add_f16_e32 v53, v57, v37
	v_lshrrev_b32_e32 v41, 16, v41
	v_fmac_f16_e32 v56, 0xb8b4, v46
	v_fmac_f16_e32 v49, 0x38b4, v46
	;; [unrolled: 1-line block ×5, first 2 shown]
	v_add_f16_e32 v43, v53, v36
	v_fmac_f16_e32 v44, 0x34f2, v47
	v_add_f16_e32 v46, v41, v32
	v_add_f16_e32 v47, v34, v35
	v_fmac_f16_e32 v56, 0x34f2, v50
	v_fmac_f16_e32 v49, 0x34f2, v50
	v_add_f16_e32 v43, v43, v39
	v_sub_f16_e32 v33, v33, v39
	v_sub_f16_e32 v39, v32, v34
	;; [unrolled: 1-line block ×3, first 2 shown]
	v_add_f16_e32 v46, v46, v34
	v_fma_f16 v47, -0.5, v47, v41
	v_sub_f16_e32 v36, v37, v36
	v_add_f16_e32 v37, v32, v38
	v_add_f16_e32 v39, v39, v50
	;; [unrolled: 1-line block ×3, first 2 shown]
	v_fmamk_f16 v50, v33, 0x3b9c, v47
	v_fmac_f16_e32 v47, 0xbb9c, v33
	v_fmac_f16_e32 v41, -0.5, v37
	v_sub_f16_e32 v32, v34, v32
	v_sub_f16_e32 v35, v35, v38
	v_add_f16_e32 v34, v46, v38
	v_fmac_f16_e32 v50, 0x38b4, v36
	v_fmac_f16_e32 v47, 0xb8b4, v36
	v_fmamk_f16 v37, v36, 0xbb9c, v41
	v_fmac_f16_e32 v41, 0x3b9c, v36
	v_sub_f16_e32 v36, v23, v15
	v_sub_f16_e32 v38, v19, v22
	v_add_f16_e32 v32, v32, v35
	v_add_f16_e32 v35, v15, v22
	v_fmac_f16_e32 v37, 0x38b4, v33
	v_fmac_f16_e32 v41, 0xb8b4, v33
	v_add_f16_e32 v36, v36, v38
	v_add_f16_e32 v38, v23, v19
	v_fma_f16 v33, -0.5, v35, v42
	v_sub_f16_e32 v35, v17, v20
	v_fmac_f16_e32 v50, 0x34f2, v39
	v_fmac_f16_e32 v47, 0x34f2, v39
	v_lshrrev_b32_e32 v39, 16, v42
	v_add_f16_e32 v46, v42, v23
	v_sub_f16_e32 v55, v16, v18
	v_fmac_f16_e32 v42, -0.5, v38
	v_fmamk_f16 v53, v35, 0xbb9c, v33
	v_fmac_f16_e32 v33, 0x3b9c, v35
	v_sub_f16_e32 v38, v15, v23
	v_sub_f16_e32 v57, v22, v19
	v_fmamk_f16 v58, v55, 0x3b9c, v42
	v_fmac_f16_e32 v42, 0xbb9c, v55
	v_fmac_f16_e32 v53, 0xb8b4, v55
	v_fmac_f16_e32 v33, 0x38b4, v55
	v_add_f16_e32 v46, v46, v15
	v_fmac_f16_e32 v58, 0xb8b4, v35
	v_fmac_f16_e32 v42, 0x38b4, v35
	v_add_f16_e32 v35, v39, v17
	v_add_f16_e32 v38, v38, v57
	v_fmac_f16_e32 v37, 0x34f2, v32
	v_fmac_f16_e32 v41, 0x34f2, v32
	v_add_f16_e32 v32, v46, v22
	v_fmac_f16_e32 v53, 0x34f2, v36
	v_fmac_f16_e32 v33, 0x34f2, v36
	v_add_f16_e32 v36, v16, v18
	v_add_f16_e32 v35, v35, v16
	v_sub_f16_e32 v15, v15, v22
	v_add_f16_e32 v22, v17, v20
	v_fmac_f16_e32 v58, 0x34f2, v38
	v_fmac_f16_e32 v42, 0x34f2, v38
	v_add_f16_e32 v32, v32, v19
	v_sub_f16_e32 v19, v23, v19
	v_sub_f16_e32 v23, v17, v16
	;; [unrolled: 1-line block ×3, first 2 shown]
	v_fma_f16 v36, -0.5, v36, v39
	v_add_f16_e32 v35, v35, v18
	v_fmac_f16_e32 v39, -0.5, v22
	v_sub_f16_e32 v16, v16, v17
	v_add_f16_e32 v23, v23, v38
	v_fmamk_f16 v38, v19, 0x3b9c, v36
	v_fmac_f16_e32 v36, 0xbb9c, v19
	v_sub_f16_e32 v18, v18, v20
	v_add_f16_e32 v17, v35, v20
	v_fmamk_f16 v20, v15, 0xbb9c, v39
	v_fmac_f16_e32 v39, 0x3b9c, v15
	v_fmac_f16_e32 v38, 0x38b4, v15
	;; [unrolled: 1-line block ×3, first 2 shown]
	v_sub_f16_e32 v15, v5, v9
	v_sub_f16_e32 v22, v10, v4
	v_add_f16_e32 v16, v16, v18
	v_add_f16_e32 v18, v9, v4
	v_fmac_f16_e32 v20, 0x38b4, v19
	v_fmac_f16_e32 v39, 0xb8b4, v19
	v_add_f16_e32 v19, v5, v10
	v_add_f16_e32 v15, v15, v22
	v_fma_f16 v18, -0.5, v18, v0
	v_sub_f16_e32 v22, v7, v13
	v_fmac_f16_e32 v38, 0x34f2, v23
	v_fmac_f16_e32 v36, 0x34f2, v23
	v_lshrrev_b32_e32 v23, 16, v0
	v_add_f16_e32 v35, v0, v5
	v_fmac_f16_e32 v0, -0.5, v19
	v_sub_f16_e32 v19, v8, v6
	v_fmamk_f16 v46, v22, 0xbb9c, v18
	v_fmac_f16_e32 v18, 0x3b9c, v22
	v_sub_f16_e32 v55, v9, v5
	v_sub_f16_e32 v57, v4, v10
	v_fmamk_f16 v59, v19, 0x3b9c, v0
	v_fmac_f16_e32 v0, 0xbb9c, v19
	v_add_f16_e32 v35, v35, v9
	v_fmac_f16_e32 v46, 0xb8b4, v19
	v_fmac_f16_e32 v18, 0x38b4, v19
	v_add_f16_e32 v19, v55, v57
	v_fmac_f16_e32 v59, 0xb8b4, v22
	v_fmac_f16_e32 v0, 0x38b4, v22
	;; [unrolled: 1-line block ×4, first 2 shown]
	v_add_f16_e32 v16, v35, v4
	v_fmac_f16_e32 v46, 0x34f2, v15
	v_fmac_f16_e32 v18, 0x34f2, v15
	v_add_f16_e32 v15, v8, v6
	v_add_f16_e32 v22, v7, v13
	v_fmac_f16_e32 v59, 0x34f2, v19
	v_fmac_f16_e32 v0, 0x34f2, v19
	v_add_f16_e32 v16, v16, v10
	v_sub_f16_e32 v5, v5, v10
	v_sub_f16_e32 v10, v7, v8
	;; [unrolled: 1-line block ×3, first 2 shown]
	v_add_f16_e32 v35, v23, v7
	v_fma_f16 v15, -0.5, v15, v23
	v_sub_f16_e32 v4, v9, v4
	v_fmac_f16_e32 v23, -0.5, v22
	v_add_f16_e32 v9, v10, v19
	v_add_f16_e32 v19, v35, v8
	v_fmamk_f16 v10, v5, 0x3b9c, v15
	v_sub_f16_e32 v7, v8, v7
	v_fmac_f16_e32 v15, 0xbb9c, v5
	v_sub_f16_e32 v8, v6, v13
	v_fmamk_f16 v22, v4, 0xbb9c, v23
	v_fmac_f16_e32 v23, 0x3b9c, v4
	v_add_f16_e32 v6, v19, v6
	v_fmac_f16_e32 v10, 0x38b4, v4
	v_fmac_f16_e32 v15, 0xb8b4, v4
	v_add_f16_e32 v4, v7, v8
	v_fmac_f16_e32 v22, 0x38b4, v5
	v_fmac_f16_e32 v23, 0xb8b4, v5
	v_add_f16_e32 v5, v6, v13
	v_pack_b32_f16 v6, v11, v25
	v_pack_b32_f16 v7, v14, v27
	;; [unrolled: 1-line block ×4, first 2 shown]
	v_fmac_f16_e32 v22, 0x34f2, v4
	v_fmac_f16_e32 v23, 0x34f2, v4
	v_pack_b32_f16 v4, v21, v26
	v_pack_b32_f16 v8, v40, v45
	v_fmac_f16_e32 v10, 0x34f2, v9
	ds_write_b32 v81, v6 offset:2500
	ds_write_b32 v81, v7 offset:5000
	;; [unrolled: 1-line block ×4, first 2 shown]
	ds_write2_b32 v81, v4, v8 offset1:125
	v_pack_b32_f16 v1, v30, v51
	v_pack_b32_f16 v7, v54, v50
	;; [unrolled: 1-line block ×4, first 2 shown]
	v_fmac_f16_e32 v15, 0x34f2, v9
	v_pack_b32_f16 v3, v3, v29
	v_pack_b32_f16 v9, v49, v41
	v_pack_b32_f16 v4, v28, v52
	v_pack_b32_f16 v11, v44, v47
	v_pack_b32_f16 v6, v43, v34
	v_pack_b32_f16 v12, v32, v17
	v_pack_b32_f16 v5, v16, v5
	ds_write2_b32 v112, v1, v7 offset0:110 offset1:235
	ds_write2_b32 v121, v2, v8 offset0:95 offset1:220
	;; [unrolled: 1-line block ×5, first 2 shown]
	v_pack_b32_f16 v1, v53, v38
	v_pack_b32_f16 v6, v46, v10
	;; [unrolled: 1-line block ×8, first 2 shown]
	ds_write_b32 v81, v5 offset:2000
	ds_write2_b32 v95, v1, v6 offset0:104 offset1:229
	ds_write2_b32 v119, v2, v7 offset0:89 offset1:214
	;; [unrolled: 1-line block ×4, first 2 shown]
	s_waitcnt lgkmcnt(0)
	s_barrier
	buffer_gl0_inv
	ds_read2_b32 v[5:6], v81 offset1:125
	s_waitcnt lgkmcnt(0)
	v_lshrrev_b32_e32 v2, 16, v5
	v_mul_f16_sdwa v3, v114, v5 dst_sel:DWORD dst_unused:UNUSED_PAD src0_sel:WORD_1 src1_sel:DWORD
	v_mul_f16_sdwa v0, v114, v2 dst_sel:DWORD dst_unused:UNUSED_PAD src0_sel:WORD_1 src1_sel:DWORD
	v_fma_f16 v2, v114, v2, -v3
	v_fmac_f16_e32 v0, v114, v5
	v_cvt_f32_f16_e32 v2, v2
	v_cvt_f32_f16_e32 v0, v0
	v_cvt_f64_f32_e32 v[2:3], v2
	v_cvt_f64_f32_e32 v[0:1], v0
	v_mul_f64 v[4:5], v[2:3], s[6:7]
	ds_read2_b32 v[2:3], v118 offset0:116 offset1:241
	v_mul_f64 v[0:1], v[0:1], s[6:7]
	s_waitcnt lgkmcnt(0)
	v_mul_f16_sdwa v17, v113, v3 dst_sel:DWORD dst_unused:UNUSED_PAD src0_sel:WORD_1 src1_sel:DWORD
	v_and_or_b32 v4, 0x1ff, v5, v4
	v_lshrrev_b32_e32 v9, 8, v5
	v_bfe_u32 v11, v5, 20, 11
	v_lshrrev_b32_e32 v5, 16, v5
	v_and_or_b32 v0, 0x1ff, v1, v0
	v_lshrrev_b32_e32 v7, 8, v1
	v_bfe_u32 v8, v1, 20, 11
	v_cmp_ne_u32_e32 vcc_lo, 0, v0
	v_add_nc_u32_e32 v18, 0xfffffc10, v8
	v_cndmask_b32_e64 v0, 0, 1, vcc_lo
	v_cmp_ne_u32_e32 vcc_lo, 0, v4
	v_cmp_gt_i32_e64 s1, 31, v18
	v_and_or_b32 v12, 0xffe, v7, v0
	v_sub_nc_u32_e32 v0, 0x3f1, v8
	v_cndmask_b32_e64 v4, 0, 1, vcc_lo
	v_lshrrev_b32_e32 v7, 16, v3
	v_or_b32_e32 v10, 0x1000, v12
	v_med3_i32 v0, v0, 0, 13
	v_and_or_b32 v14, 0xffe, v9, v4
	v_mul_f16_sdwa v13, v113, v7 dst_sel:DWORD dst_unused:UNUSED_PAD src0_sel:WORD_1 src1_sel:DWORD
	v_sub_nc_u32_e32 v4, 0x3f1, v11
	v_fma_f16 v7, v113, v7, -v17
	v_lshrrev_b32_e32 v9, v0, v10
	v_or_b32_e32 v15, 0x1000, v14
	v_fmac_f16_e32 v13, v113, v3
	v_med3_i32 v16, v4, 0, 13
	v_cvt_f32_f16_e32 v7, v7
	v_lshlrev_b32_e32 v0, v0, v9
	v_cvt_f32_f16_e32 v4, v13
	v_lshrrev_b32_e32 v13, v16, v15
	v_cmp_ne_u32_e32 vcc_lo, v0, v10
	v_cvt_f64_f32_e32 v[3:4], v4
	v_lshlrev_b32_e32 v8, v16, v13
	v_lshl_or_b32 v16, v18, 12, v12
	v_cndmask_b32_e64 v0, 0, 1, vcc_lo
	v_cmp_gt_i32_e32 vcc_lo, 1, v18
	v_or_b32_e32 v0, v9, v0
	v_mad_u64_u32 v[9:10], null, s10, v76, 0
	v_cndmask_b32_e32 v16, v16, v0, vcc_lo
	v_cmp_ne_u32_e32 vcc_lo, v8, v15
	v_add_nc_u32_e32 v15, 0xfffffc10, v11
	v_cvt_f64_f32_e32 v[7:8], v7
	v_and_b32_e32 v11, 7, v16
	v_cndmask_b32_e64 v0, 0, 1, vcc_lo
	v_lshl_or_b32 v17, v15, 12, v14
	v_cmp_gt_i32_e64 s0, 1, v15
	v_lshrrev_b32_e32 v16, 2, v16
	v_cmp_lt_i32_e32 vcc_lo, 5, v11
	v_or_b32_e32 v13, v13, v0
	v_mov_b32_e32 v0, v10
	v_mul_f64 v[3:4], v[3:4], s[6:7]
	v_cndmask_b32_e64 v13, v17, v13, s0
	v_cmp_eq_u32_e64 s0, 3, v11
	v_mad_u64_u32 v[10:11], null, s11, v76, v[0:1]
	v_and_b32_e32 v0, 7, v13
	s_or_b32 vcc_lo, s0, vcc_lo
	v_add_co_ci_u32_e32 v16, vcc_lo, 0, v16, vcc_lo
	v_cmp_ne_u32_e32 vcc_lo, 0, v12
	v_cmp_eq_u32_e64 s0, 3, v0
	v_mul_f64 v[11:12], v[7:8], s[6:7]
	v_lshrrev_b32_e32 v7, 2, v13
	v_lshlrev_b64 v[9:10], 2, v[9:10]
	v_cndmask_b32_e64 v17, 0, 1, vcc_lo
	v_cmp_lt_i32_e32 vcc_lo, 5, v0
	v_cndmask_b32_e64 v0, 0x7c00, v16, s1
	v_and_or_b32 v3, 0x1ff, v4, v3
	v_lshl_or_b32 v8, v17, 9, 0x7c00
	s_or_b32 vcc_lo, s0, vcc_lo
	v_lshrrev_b32_e32 v17, 16, v1
	v_add_co_ci_u32_e32 v13, vcc_lo, 0, v7, vcc_lo
	v_cmp_eq_u32_e32 vcc_lo, 0x40f, v18
	v_bfe_u32 v18, v4, 20, 11
	v_cndmask_b32_e32 v16, v0, v8, vcc_lo
	v_cmp_ne_u32_e32 vcc_lo, 0, v14
	ds_read2_b32 v[7:8], v117 offset0:98 offset1:223
	v_sub_nc_u32_e32 v14, 0x3f1, v18
	v_and_or_b32 v11, 0x1ff, v12, v11
	v_lshrrev_b32_e32 v21, 8, v12
	v_cndmask_b32_e64 v0, 0, 1, vcc_lo
	v_cmp_ne_u32_e32 vcc_lo, 0, v3
	v_lshrrev_b32_e32 v3, 8, v4
	v_med3_i32 v14, v14, 0, 13
	v_bfe_u32 v22, v12, 20, 11
	v_lshl_or_b32 v19, v0, 9, 0x7c00
	v_cndmask_b32_e64 v1, 0, 1, vcc_lo
	v_cmp_gt_i32_e32 vcc_lo, 31, v15
	v_lshrrev_b32_e32 v4, 16, v4
	v_lshrrev_b32_e32 v12, 16, v12
	v_and_or_b32 v3, 0xffe, v3, v1
	v_cndmask_b32_e32 v13, 0x7c00, v13, vcc_lo
	v_cmp_ne_u32_e32 vcc_lo, 0, v11
	v_mad_u64_u32 v[0:1], null, s8, v110, 0
	v_or_b32_e32 v20, 0x1000, v3
	v_cndmask_b32_e64 v11, 0, 1, vcc_lo
	v_cmp_eq_u32_e32 vcc_lo, 0x40f, v15
	v_and_or_b32 v11, 0xffe, v21, v11
	v_cndmask_b32_e32 v15, v13, v19, vcc_lo
	v_lshrrev_b32_e32 v19, v14, v20
	v_sub_nc_u32_e32 v13, 0x3f1, v22
	s_waitcnt lgkmcnt(0)
	v_lshrrev_b32_e32 v21, 16, v7
	v_or_b32_e32 v24, 0x1000, v11
	v_and_or_b32 v5, 0x8000, v5, v15
	v_lshlrev_b32_e32 v23, v14, v19
	v_med3_i32 v25, v13, 0, 13
	v_mul_f16_sdwa v26, v111, v21 dst_sel:DWORD dst_unused:UNUSED_PAD src0_sel:WORD_1 src1_sel:DWORD
	v_mad_u64_u32 v[13:14], null, s9, v110, v[1:2]
	v_and_or_b32 v1, 0x8000, v17, v16
	v_lshrrev_b32_e32 v16, v25, v24
	v_fmac_f16_e32 v26, v111, v7
	v_cmp_ne_u32_e32 vcc_lo, v23, v20
	v_add_nc_u32_e32 v17, 0xfffffc10, v18
	v_and_b32_e32 v18, 0xffff, v1
	v_lshlrev_b32_e32 v20, v25, v16
	v_cvt_f32_f16_e32 v15, v26
	v_cndmask_b32_e64 v14, 0, 1, vcc_lo
	v_lshl_or_b32 v23, v17, 12, v3
	v_mov_b32_e32 v1, v13
	v_cmp_ne_u32_e32 vcc_lo, v20, v24
	v_mul_f16_sdwa v7, v111, v7 dst_sel:DWORD dst_unused:UNUSED_PAD src0_sel:WORD_1 src1_sel:DWORD
	v_or_b32_e32 v19, v19, v14
	v_cvt_f64_f32_e32 v[14:15], v15
	v_add_nc_u32_e32 v20, 0xfffffc10, v22
	v_cndmask_b32_e64 v13, 0, 1, vcc_lo
	v_cmp_gt_i32_e32 vcc_lo, 1, v17
	v_fma_f16 v7, v111, v21, -v7
	v_lshl_or_b32 v5, v5, 16, v18
	v_or_b32_e32 v13, v16, v13
	v_cndmask_b32_e32 v19, v23, v19, vcc_lo
	v_lshl_or_b32 v16, v20, 12, v11
	v_cmp_gt_i32_e32 vcc_lo, 1, v20
	v_cvt_f32_f16_e32 v7, v7
	v_and_b32_e32 v18, 7, v19
	v_cndmask_b32_e32 v21, v16, v13, vcc_lo
	v_add_co_u32 v22, vcc_lo, s2, v9
	v_add_co_ci_u32_e32 v23, vcc_lo, s3, v10, vcc_lo
	v_cmp_lt_i32_e32 vcc_lo, 5, v18
	v_cmp_eq_u32_e64 s0, 3, v18
	v_mul_f64 v[9:10], v[14:15], s[6:7]
	v_cvt_f64_f32_e32 v[13:14], v7
	v_and_b32_e32 v7, 7, v21
	v_lshrrev_b32_e32 v18, 2, v19
	s_or_b32 vcc_lo, s0, vcc_lo
	v_lshlrev_b64 v[15:16], 2, v[0:1]
	ds_read2_b32 v[0:1], v116 offset0:86 offset1:211
	v_cmp_lt_i32_e64 s1, 5, v7
	v_cmp_eq_u32_e64 s2, 3, v7
	v_add_co_ci_u32_e32 v7, vcc_lo, 0, v18, vcc_lo
	v_cmp_ne_u32_e32 vcc_lo, 0, v3
	v_lshrrev_b32_e32 v18, 2, v21
	s_mul_i32 s0, s9, 0x9c4
	s_mul_hi_u32 s3, s8, 0x9c4
	v_cndmask_b32_e64 v3, 0, 1, vcc_lo
	s_or_b32 vcc_lo, s2, s1
	s_add_i32 s3, s3, s0
	v_add_co_ci_u32_e32 v18, vcc_lo, 0, v18, vcc_lo
	v_cmp_ne_u32_e32 vcc_lo, 0, v11
	v_and_or_b32 v9, 0x1ff, v10, v9
	v_mul_f64 v[13:14], v[13:14], s[6:7]
	v_lshl_or_b32 v3, v3, 9, 0x7c00
	v_bfe_u32 v21, v10, 20, 11
	v_cndmask_b32_e64 v11, 0, 1, vcc_lo
	v_cmp_gt_i32_e32 vcc_lo, 31, v17
	s_waitcnt lgkmcnt(0)
	v_lshrrev_b32_e32 v19, 16, v1
	v_lshl_or_b32 v11, v11, 9, 0x7c00
	v_cndmask_b32_e32 v7, 0x7c00, v7, vcc_lo
	v_cmp_gt_i32_e32 vcc_lo, 31, v20
	v_cndmask_b32_e32 v18, 0x7c00, v18, vcc_lo
	v_cmp_eq_u32_e32 vcc_lo, 0x40f, v17
	v_lshrrev_b32_e32 v17, 8, v10
	v_cndmask_b32_e32 v3, v7, v3, vcc_lo
	v_cmp_ne_u32_e32 vcc_lo, 0, v9
	v_mul_f16_sdwa v9, v109, v19 dst_sel:DWORD dst_unused:UNUSED_PAD src0_sel:WORD_1 src1_sel:DWORD
	v_and_or_b32 v13, 0x1ff, v14, v13
	v_cndmask_b32_e64 v7, 0, 1, vcc_lo
	v_cmp_eq_u32_e32 vcc_lo, 0x40f, v20
	v_fmac_f16_e32 v9, v109, v1
	v_mul_f16_sdwa v1, v109, v1 dst_sel:DWORD dst_unused:UNUSED_PAD src0_sel:WORD_1 src1_sel:DWORD
	v_and_or_b32 v7, 0xffe, v17, v7
	v_sub_nc_u32_e32 v17, 0x3f1, v21
	v_cndmask_b32_e32 v11, v18, v11, vcc_lo
	v_and_or_b32 v18, 0x8000, v4, v3
	v_cvt_f32_f16_e32 v3, v9
	v_or_b32_e32 v9, 0x1000, v7
	v_med3_i32 v17, v17, 0, 13
	v_and_or_b32 v20, 0x8000, v12, v11
	v_add_co_u32 v11, vcc_lo, v22, v15
	v_cvt_f64_f32_e32 v[3:4], v3
	v_add_co_ci_u32_e32 v12, vcc_lo, v23, v16, vcc_lo
	v_lshrrev_b32_e32 v24, v17, v9
	v_cmp_ne_u32_e32 vcc_lo, 0, v13
	v_lshrrev_b32_e32 v15, 8, v14
	v_bfe_u32 v22, v14, 20, 11
	v_add_nc_u32_e32 v21, 0xfffffc10, v21
	v_lshlrev_b32_e32 v16, v17, v24
	v_cndmask_b32_e64 v13, 0, 1, vcc_lo
	v_fma_f16 v1, v109, v19, -v1
	v_and_b32_e32 v18, 0xffff, v18
	global_store_dword v[11:12], v5, off
	v_cmp_ne_u32_e32 vcc_lo, v16, v9
	v_and_or_b32 v13, 0xffe, v15, v13
	v_sub_nc_u32_e32 v15, 0x3f1, v22
	v_cvt_f32_f16_e32 v1, v1
	v_lshl_or_b32 v23, v20, 16, v18
	v_cndmask_b32_e64 v9, 0, 1, vcc_lo
	v_or_b32_e32 v25, 0x1000, v13
	v_med3_i32 v17, v15, 0, 13
	v_cmp_gt_i32_e32 vcc_lo, 1, v21
	v_mul_f64 v[15:16], v[3:4], s[6:7]
	v_or_b32_e32 v3, v24, v9
	v_lshl_or_b32 v4, v21, 12, v7
	v_lshrrev_b32_e32 v9, v17, v25
	v_add_nc_u32_e32 v22, 0xfffffc10, v22
	v_lshrrev_b32_e32 v14, 16, v14
	v_cndmask_b32_e32 v3, v4, v3, vcc_lo
	v_lshlrev_b32_e32 v4, v17, v9
	v_add_co_u32 v19, vcc_lo, v11, s4
	v_cvt_f64_f32_e32 v[17:18], v1
	v_add_co_ci_u32_e32 v20, vcc_lo, s3, v12, vcc_lo
	v_cmp_ne_u32_e32 vcc_lo, v4, v25
	v_and_b32_e32 v24, 7, v3
	v_cmp_gt_i32_e64 s1, 1, v22
	ds_read2_b32 v[4:5], v115 offset0:68 offset1:193
	v_lshrrev_b32_e32 v3, 2, v3
	v_cndmask_b32_e64 v1, 0, 1, vcc_lo
	v_cmp_lt_i32_e32 vcc_lo, 5, v24
	v_cmp_eq_u32_e64 s0, 3, v24
	v_and_or_b32 v11, 0x1ff, v16, v15
	global_store_dword v[19:20], v23, off
	v_or_b32_e32 v1, v9, v1
	v_lshl_or_b32 v9, v22, 12, v13
	s_or_b32 vcc_lo, s0, vcc_lo
	v_lshrrev_b32_e32 v15, 8, v16
	v_add_co_ci_u32_e32 v3, vcc_lo, 0, v3, vcc_lo
	v_cndmask_b32_e64 v1, v9, v1, s1
	v_cmp_ne_u32_e64 s1, 0, v11
	v_cmp_ne_u32_e32 vcc_lo, 0, v7
	v_mul_f64 v[11:12], v[17:18], s[6:7]
	v_bfe_u32 v23, v16, 20, 11
	v_and_b32_e32 v17, 7, v1
	v_lshrrev_b32_e32 v1, 2, v1
	v_cndmask_b32_e64 v7, 0, 1, vcc_lo
	v_cndmask_b32_e64 v9, 0, 1, s1
	v_cmp_gt_i32_e64 s1, 31, v21
	v_cmp_lt_i32_e32 vcc_lo, 5, v17
	v_cmp_eq_u32_e64 s0, 3, v17
	s_waitcnt lgkmcnt(0)
	v_lshrrev_b32_e32 v25, 16, v4
	v_and_or_b32 v15, 0xffe, v15, v9
	v_sub_nc_u32_e32 v9, 0x3f1, v23
	v_cndmask_b32_e64 v3, 0x7c00, v3, s1
	s_or_b32 vcc_lo, s0, vcc_lo
	v_lshl_or_b32 v7, v7, 9, 0x7c00
	v_add_co_ci_u32_e32 v1, vcc_lo, 0, v1, vcc_lo
	v_cmp_eq_u32_e32 vcc_lo, 0x40f, v21
	v_mul_f16_sdwa v17, v107, v25 dst_sel:DWORD dst_unused:UNUSED_PAD src0_sel:WORD_1 src1_sel:DWORD
	v_or_b32_e32 v24, 0x1000, v15
	v_med3_i32 v9, v9, 0, 13
	v_lshrrev_b32_e32 v16, 16, v16
	v_cndmask_b32_e32 v7, v3, v7, vcc_lo
	v_cmp_gt_i32_e32 vcc_lo, 31, v22
	v_fmac_f16_e32 v17, v107, v4
	v_lshrrev_b32_e32 v26, v9, v24
	v_and_or_b32 v3, 0x1ff, v12, v11
	v_lshrrev_b32_e32 v21, 8, v12
	v_cndmask_b32_e32 v1, 0x7c00, v1, vcc_lo
	v_cmp_ne_u32_e32 vcc_lo, 0, v13
	v_cvt_f32_f16_e32 v13, v17
	v_lshlrev_b32_e32 v9, v9, v26
	v_bfe_u32 v27, v12, 20, 11
	v_mul_f16_sdwa v4, v107, v4 dst_sel:DWORD dst_unused:UNUSED_PAD src0_sel:WORD_1 src1_sel:DWORD
	v_cndmask_b32_e64 v11, 0, 1, vcc_lo
	v_cmp_ne_u32_e32 vcc_lo, 0, v3
	v_cvt_f64_f32_e32 v[17:18], v13
	v_add_nc_u32_e32 v13, 0xfffffc10, v23
	v_fma_f16 v4, v107, v25, -v4
	v_cndmask_b32_e64 v3, 0, 1, vcc_lo
	v_cmp_ne_u32_e32 vcc_lo, v9, v24
	v_lshl_or_b32 v23, v13, 12, v15
	v_and_or_b32 v21, 0xffe, v21, v3
	v_cndmask_b32_e64 v9, 0, 1, vcc_lo
	v_lshl_or_b32 v3, v11, 9, 0x7c00
	v_sub_nc_u32_e32 v11, 0x3f1, v27
	v_cmp_gt_i32_e32 vcc_lo, 1, v13
	v_or_b32_e32 v24, 0x1000, v21
	v_or_b32_e32 v9, v26, v9
	v_lshrrev_b32_e32 v26, 16, v10
	v_med3_i32 v11, v11, 0, 13
	v_cndmask_b32_e32 v23, v23, v9, vcc_lo
	v_cmp_eq_u32_e32 vcc_lo, 0x40f, v22
	v_lshrrev_b32_e32 v25, v11, v24
	v_cvt_f32_f16_e32 v9, v4
	v_and_or_b32 v7, 0x8000, v26, v7
	v_and_b32_e32 v22, 7, v23
	v_cndmask_b32_e32 v1, v1, v3, vcc_lo
	v_mul_f64 v[3:4], v[17:18], s[6:7]
	v_lshlrev_b32_e32 v11, v11, v25
	v_cvt_f64_f32_e32 v[9:10], v9
	v_cmp_lt_i32_e32 vcc_lo, 5, v22
	v_cmp_eq_u32_e64 s0, 3, v22
	v_lshrrev_b32_e32 v17, 2, v23
	v_cmp_ne_u32_e64 s1, v11, v24
	v_add_nc_u32_e32 v18, 0xfffffc10, v27
	v_and_or_b32 v1, 0x8000, v14, v1
	s_or_b32 vcc_lo, s0, vcc_lo
	v_and_b32_e32 v7, 0xffff, v7
	v_add_co_ci_u32_e32 v17, vcc_lo, 0, v17, vcc_lo
	v_cndmask_b32_e64 v11, 0, 1, s1
	v_cmp_ne_u32_e32 vcc_lo, 0, v15
	v_lshl_or_b32 v22, v18, 12, v21
	v_lshl_or_b32 v1, v1, 16, v7
	v_or_b32_e32 v11, v25, v11
	v_cndmask_b32_e64 v14, 0, 1, vcc_lo
	v_cmp_gt_i32_e32 vcc_lo, 1, v18
	v_and_or_b32 v3, 0x1ff, v4, v3
	v_lshrrev_b32_e32 v7, 8, v4
	v_mul_f64 v[9:10], v[9:10], s[6:7]
	v_cndmask_b32_e32 v11, v22, v11, vcc_lo
	v_cmp_gt_i32_e32 vcc_lo, 31, v13
	v_lshl_or_b32 v14, v14, 9, 0x7c00
	v_bfe_u32 v22, v4, 20, 11
	v_cndmask_b32_e32 v15, 0x7c00, v17, vcc_lo
	v_cmp_ne_u32_e32 vcc_lo, 0, v3
	v_and_b32_e32 v17, 7, v11
	v_lshrrev_b32_e32 v11, 2, v11
	v_cndmask_b32_e64 v3, 0, 1, vcc_lo
	v_cmp_eq_u32_e32 vcc_lo, 0x40f, v13
	v_cmp_eq_u32_e64 s0, 3, v17
	v_and_or_b32 v3, 0xffe, v7, v3
	v_cndmask_b32_e32 v15, v15, v14, vcc_lo
	v_cmp_lt_i32_e32 vcc_lo, 5, v17
	v_sub_nc_u32_e32 v7, 0x3f1, v22
	v_lshrrev_b32_e32 v17, 16, v6
	v_or_b32_e32 v23, 0x1000, v3
	v_and_or_b32 v9, 0x1ff, v10, v9
	s_or_b32 vcc_lo, s0, vcc_lo
	v_med3_i32 v7, v7, 0, 13
	v_add_co_ci_u32_e32 v11, vcc_lo, 0, v11, vcc_lo
	v_cmp_ne_u32_e32 vcc_lo, 0, v21
	v_mul_f16_sdwa v13, v106, v17 dst_sel:DWORD dst_unused:UNUSED_PAD src0_sel:WORD_1 src1_sel:DWORD
	v_lshrrev_b32_e32 v24, v7, v23
	v_add_nc_u32_e32 v22, 0xfffffc10, v22
	v_lshrrev_b32_e32 v25, 8, v10
	v_cndmask_b32_e64 v21, 0, 1, vcc_lo
	v_cmp_gt_i32_e32 vcc_lo, 31, v18
	v_fmac_f16_e32 v13, v106, v6
	v_lshlrev_b32_e32 v7, v7, v24
	v_mul_f16_sdwa v6, v106, v6 dst_sel:DWORD dst_unused:UNUSED_PAD src0_sel:WORD_1 src1_sel:DWORD
	v_bfe_u32 v26, v10, 20, 11
	v_cndmask_b32_e32 v11, 0x7c00, v11, vcc_lo
	v_cmp_ne_u32_e32 vcc_lo, 0, v9
	v_cvt_f32_f16_e32 v13, v13
	v_fma_f16 v6, v106, v17, -v6
	v_lshl_or_b32 v17, v22, 12, v3
	v_lshl_or_b32 v21, v21, 9, 0x7c00
	v_cndmask_b32_e64 v9, 0, 1, vcc_lo
	v_cmp_ne_u32_e32 vcc_lo, v7, v23
	v_cvt_f64_f32_e32 v[13:14], v13
	v_cvt_f32_f16_e32 v6, v6
	v_sub_nc_u32_e32 v23, 0x3f1, v26
	v_and_or_b32 v9, 0xffe, v25, v9
	v_cndmask_b32_e64 v7, 0, 1, vcc_lo
	v_cmp_gt_i32_e32 vcc_lo, 1, v22
	v_and_or_b32 v15, 0x8000, v16, v15
	v_med3_i32 v23, v23, 0, 13
	v_lshrrev_b32_e32 v10, 16, v10
	v_or_b32_e32 v7, v24, v7
	v_or_b32_e32 v24, 0x1000, v9
	v_cndmask_b32_e32 v17, v17, v7, vcc_lo
	v_cvt_f64_f32_e32 v[6:7], v6
	v_cmp_eq_u32_e32 vcc_lo, 0x40f, v18
	v_lshrrev_b32_e32 v25, v23, v24
	v_and_b32_e32 v27, 7, v17
	v_cndmask_b32_e32 v18, v11, v21, vcc_lo
	v_lshrrev_b32_e32 v21, 16, v12
	v_mul_f64 v[11:12], v[13:14], s[6:7]
	v_add_co_u32 v13, vcc_lo, v19, s4
	v_add_co_ci_u32_e32 v14, vcc_lo, s3, v20, vcc_lo
	v_cmp_lt_i32_e32 vcc_lo, 5, v27
	v_cmp_eq_u32_e64 s0, 3, v27
	v_and_b32_e32 v19, 0xffff, v15
	v_lshrrev_b32_e32 v15, 2, v17
	v_lshlrev_b32_e32 v23, v23, v25
	v_and_or_b32 v18, 0x8000, v21, v18
	s_or_b32 vcc_lo, s0, vcc_lo
	v_add_nc_u32_e32 v20, 0xfffffc10, v26
	v_add_co_ci_u32_e32 v21, vcc_lo, 0, v15, vcc_lo
	v_cmp_ne_u32_e64 s1, v23, v24
	v_cmp_ne_u32_e32 vcc_lo, 0, v3
	v_mul_f64 v[15:16], v[6:7], s[6:7]
	v_lshl_or_b32 v7, v20, 12, v9
	global_store_dword v[13:14], v1, off
	v_cndmask_b32_e64 v17, 0, 1, s1
	v_cndmask_b32_e64 v3, 0, 1, vcc_lo
	v_cmp_gt_i32_e32 vcc_lo, 31, v22
	v_and_or_b32 v11, 0x1ff, v12, v11
	v_bfe_u32 v23, v12, 20, 11
	v_or_b32_e32 v6, v25, v17
	v_lshl_or_b32 v3, v3, 9, 0x7c00
	v_cndmask_b32_e32 v17, 0x7c00, v21, vcc_lo
	v_cmp_gt_i32_e32 vcc_lo, 1, v20
	v_lshl_or_b32 v18, v18, 16, v19
	v_lshrrev_b32_e32 v19, 16, v4
	v_cndmask_b32_e32 v1, v7, v6, vcc_lo
	v_cmp_eq_u32_e32 vcc_lo, 0x40f, v22
	ds_read2_b32 v[6:7], v112 offset0:110 offset1:235
	v_lshrrev_b32_e32 v22, 8, v12
	v_lshrrev_b32_e32 v12, 16, v12
	v_and_b32_e32 v21, 7, v1
	v_cndmask_b32_e32 v17, v17, v3, vcc_lo
	v_cmp_ne_u32_e32 vcc_lo, 0, v11
	v_and_or_b32 v15, 0x1ff, v16, v15
	v_lshrrev_b32_e32 v1, 2, v1
	v_cmp_eq_u32_e64 s0, 3, v21
	v_and_or_b32 v17, 0x8000, v19, v17
	v_cndmask_b32_e64 v11, 0, 1, vcc_lo
	v_add_co_u32 v3, vcc_lo, v13, s4
	v_sub_nc_u32_e32 v13, 0x3f1, v23
	v_cmp_ne_u32_e64 s1, 0, v15
	v_and_or_b32 v11, 0xffe, v22, v11
	v_add_co_ci_u32_e32 v4, vcc_lo, s3, v14, vcc_lo
	v_cmp_lt_i32_e32 vcc_lo, 5, v21
	v_cndmask_b32_e64 v14, 0, 1, s1
	v_lshrrev_b32_e32 v15, 8, v16
	v_bfe_u32 v21, v16, 20, 11
	v_or_b32_e32 v22, 0x1000, v11
	v_med3_i32 v13, v13, 0, 13
	s_or_b32 vcc_lo, s0, vcc_lo
	v_and_or_b32 v15, 0xffe, v15, v14
	v_add_co_ci_u32_e32 v1, vcc_lo, 0, v1, vcc_lo
	v_sub_nc_u32_e32 v14, 0x3f1, v21
	s_waitcnt lgkmcnt(0)
	v_lshrrev_b32_e32 v24, 16, v6
	v_lshrrev_b32_e32 v25, v13, v22
	v_cmp_ne_u32_e32 vcc_lo, 0, v9
	v_or_b32_e32 v26, 0x1000, v15
	v_med3_i32 v14, v14, 0, 13
	v_mul_f16_sdwa v27, v105, v24 dst_sel:DWORD dst_unused:UNUSED_PAD src0_sel:WORD_1 src1_sel:DWORD
	v_lshlrev_b32_e32 v13, v13, v25
	v_cndmask_b32_e64 v9, 0, 1, vcc_lo
	v_cmp_gt_i32_e32 vcc_lo, 31, v20
	v_lshrrev_b32_e32 v28, v14, v26
	v_fmac_f16_e32 v27, v105, v6
	v_add_nc_u32_e32 v21, 0xfffffc10, v21
	v_lshl_or_b32 v9, v9, 9, 0x7c00
	v_cndmask_b32_e32 v1, 0x7c00, v1, vcc_lo
	v_cmp_ne_u32_e32 vcc_lo, v13, v22
	v_cvt_f32_f16_e32 v27, v27
	v_lshlrev_b32_e32 v29, v14, v28
	v_mul_f16_sdwa v6, v105, v6 dst_sel:DWORD dst_unused:UNUSED_PAD src0_sel:WORD_1 src1_sel:DWORD
	global_store_dword v[3:4], v18, off
	v_cndmask_b32_e64 v19, 0, 1, vcc_lo
	v_cmp_eq_u32_e32 vcc_lo, 0x40f, v20
	v_cvt_f64_f32_e32 v[13:14], v27
	v_add_nc_u32_e32 v20, 0xfffffc10, v23
	v_lshl_or_b32 v23, v21, 12, v15
	v_or_b32_e32 v19, v25, v19
	v_cndmask_b32_e32 v1, v1, v9, vcc_lo
	v_cmp_ne_u32_e32 vcc_lo, v29, v26
	v_lshl_or_b32 v22, v20, 12, v11
	v_fma_f16 v6, v105, v24, -v6
	v_and_b32_e32 v17, 0xffff, v17
	v_and_or_b32 v1, 0x8000, v10, v1
	v_cndmask_b32_e64 v9, 0, 1, vcc_lo
	v_cmp_gt_i32_e32 vcc_lo, 1, v20
	v_cvt_f32_f16_e32 v6, v6
	v_lshrrev_b32_e32 v16, 16, v16
	v_lshl_or_b32 v1, v1, 16, v17
	v_or_b32_e32 v9, v28, v9
	v_cndmask_b32_e32 v19, v22, v19, vcc_lo
	v_cmp_gt_i32_e32 vcc_lo, 1, v21
	v_cndmask_b32_e32 v22, v23, v9, vcc_lo
	v_and_b32_e32 v23, 7, v19
	v_mul_f64 v[9:10], v[13:14], s[6:7]
	v_cvt_f64_f32_e32 v[13:14], v6
	v_lshrrev_b32_e32 v6, 2, v19
	v_and_b32_e32 v24, 7, v22
	v_cmp_lt_i32_e32 vcc_lo, 5, v23
	v_cmp_eq_u32_e64 s0, 3, v23
	v_lshrrev_b32_e32 v18, 2, v22
	v_lshrrev_b32_e32 v19, 16, v8
	v_cmp_lt_i32_e64 s1, 5, v24
	v_cmp_eq_u32_e64 s2, 3, v24
	s_or_b32 vcc_lo, s0, vcc_lo
	s_mul_hi_u32 s0, s8, 0xffffdae4
	v_add_co_ci_u32_e32 v6, vcc_lo, 0, v6, vcc_lo
	v_cmp_ne_u32_e32 vcc_lo, 0, v11
	v_cndmask_b32_e64 v11, 0, 1, vcc_lo
	s_or_b32 vcc_lo, s2, s1
	s_mul_i32 s1, s9, 0xffffdae4
	v_add_co_ci_u32_e32 v18, vcc_lo, 0, v18, vcc_lo
	v_cmp_ne_u32_e32 vcc_lo, 0, v15
	v_and_or_b32 v9, 0x1ff, v10, v9
	v_mul_f64 v[13:14], v[13:14], s[6:7]
	v_lshl_or_b32 v11, v11, 9, 0x7c00
	v_lshrrev_b32_e32 v22, 8, v10
	v_cndmask_b32_e64 v15, 0, 1, vcc_lo
	v_cmp_gt_i32_e32 vcc_lo, 31, v20
	v_bfe_u32 v23, v10, 20, 11
	s_sub_i32 s2, s0, s8
	v_lshrrev_b32_e32 v10, 16, v10
	v_lshl_or_b32 v15, v15, 9, 0x7c00
	v_cndmask_b32_e32 v6, 0x7c00, v6, vcc_lo
	v_cmp_gt_i32_e32 vcc_lo, 31, v21
	s_add_i32 s2, s2, s1
	v_cndmask_b32_e32 v18, 0x7c00, v18, vcc_lo
	v_cmp_ne_u32_e32 vcc_lo, 0, v9
	v_cndmask_b32_e64 v9, 0, 1, vcc_lo
	v_cmp_eq_u32_e32 vcc_lo, 0x40f, v20
	v_and_or_b32 v13, 0x1ff, v14, v13
	v_and_or_b32 v20, 0xffe, v22, v9
	v_cndmask_b32_e32 v6, v6, v11, vcc_lo
	v_mul_f16_sdwa v11, v103, v19 dst_sel:DWORD dst_unused:UNUSED_PAD src0_sel:WORD_1 src1_sel:DWORD
	v_sub_nc_u32_e32 v9, 0x3f1, v23
	v_cmp_eq_u32_e32 vcc_lo, 0x40f, v21
	v_bfe_u32 v21, v14, 20, 11
	v_and_or_b32 v6, 0x8000, v12, v6
	v_fmac_f16_e32 v11, v103, v8
	v_med3_i32 v9, v9, 0, 13
	v_cndmask_b32_e32 v15, v18, v15, vcc_lo
	v_or_b32_e32 v18, 0x1000, v20
	v_add_co_u32 v3, vcc_lo, v3, s4
	v_cvt_f32_f16_e32 v11, v11
	v_add_co_ci_u32_e32 v4, vcc_lo, s3, v4, vcc_lo
	v_lshrrev_b32_e32 v17, v9, v18
	v_cmp_ne_u32_e32 vcc_lo, 0, v13
	v_cvt_f64_f32_e32 v[11:12], v11
	v_and_or_b32 v15, 0x8000, v16, v15
	v_and_b32_e32 v6, 0xffff, v6
	v_lshlrev_b32_e32 v9, v9, v17
	v_cndmask_b32_e64 v13, 0, 1, vcc_lo
	v_lshrrev_b32_e32 v16, 8, v14
	v_mul_f16_sdwa v22, v103, v8 dst_sel:DWORD dst_unused:UNUSED_PAD src0_sel:WORD_1 src1_sel:DWORD
	v_lshl_or_b32 v6, v15, 16, v6
	v_sub_nc_u32_e32 v15, 0x3f1, v21
	v_cmp_ne_u32_e32 vcc_lo, v9, v18
	v_and_or_b32 v13, 0xffe, v16, v13
	v_add_nc_u32_e32 v18, 0xfffffc10, v23
	v_add_nc_u32_e32 v21, 0xfffffc10, v21
	v_med3_i32 v15, v15, 0, 13
	v_cndmask_b32_e64 v9, 0, 1, vcc_lo
	v_or_b32_e32 v16, 0x1000, v13
	v_lshl_or_b32 v23, v18, 12, v20
	v_cmp_gt_i32_e32 vcc_lo, 1, v18
	global_store_dword v[3:4], v1, off
	v_or_b32_e32 v17, v17, v9
	v_cmp_gt_i32_e64 s1, 1, v21
	v_mul_f64 v[8:9], v[11:12], s[6:7]
	v_fma_f16 v11, v103, v19, -v22
	v_lshrrev_b32_e32 v19, v15, v16
	v_cndmask_b32_e32 v17, v23, v17, vcc_lo
	v_cvt_f32_f16_e32 v11, v11
	v_lshlrev_b32_e32 v15, v15, v19
	v_and_b32_e32 v22, 7, v17
	v_cvt_f64_f32_e32 v[11:12], v11
	v_cmp_ne_u32_e32 vcc_lo, v15, v16
	v_cmp_eq_u32_e64 s0, 3, v22
	v_cndmask_b32_e64 v23, 0, 1, vcc_lo
	v_add_co_u32 v15, vcc_lo, v3, s5
	v_lshl_or_b32 v3, v21, 12, v13
	v_add_co_ci_u32_e32 v16, vcc_lo, s2, v4, vcc_lo
	v_or_b32_e32 v1, v19, v23
	v_cmp_lt_i32_e32 vcc_lo, 5, v22
	v_and_or_b32 v4, 0x1ff, v9, v8
	v_lshrrev_b32_e32 v8, 2, v17
	v_lshrrev_b32_e32 v19, 8, v9
	v_cndmask_b32_e64 v1, v3, v1, s1
	s_or_b32 vcc_lo, s0, vcc_lo
	v_cmp_ne_u32_e64 s1, 0, v4
	v_add_co_ci_u32_e32 v8, vcc_lo, 0, v8, vcc_lo
	v_and_b32_e32 v23, 7, v1
	v_cmp_ne_u32_e32 vcc_lo, 0, v20
	ds_read2_b32 v[3:4], v108 offset0:80 offset1:205
	v_cndmask_b32_e64 v17, 0, 1, s1
	v_bfe_u32 v22, v9, 20, 11
	v_cmp_eq_u32_e64 s0, 3, v23
	v_cndmask_b32_e64 v20, 0, 1, vcc_lo
	v_cmp_lt_i32_e32 vcc_lo, 5, v23
	v_mul_f64 v[11:12], v[11:12], s[6:7]
	v_lshrrev_b32_e32 v1, 2, v1
	v_and_or_b32 v19, 0xffe, v19, v17
	v_sub_nc_u32_e32 v17, 0x3f1, v22
	v_cmp_gt_i32_e64 s1, 31, v18
	s_or_b32 vcc_lo, s0, vcc_lo
	v_lshl_or_b32 v20, v20, 9, 0x7c00
	v_add_co_ci_u32_e32 v1, vcc_lo, 0, v1, vcc_lo
	v_or_b32_e32 v24, 0x1000, v19
	v_med3_i32 v17, v17, 0, 13
	v_cndmask_b32_e64 v8, 0x7c00, v8, s1
	v_cmp_eq_u32_e32 vcc_lo, 0x40f, v18
	v_add_nc_u32_e32 v22, 0xfffffc10, v22
	s_waitcnt lgkmcnt(0)
	v_lshrrev_b32_e32 v25, 16, v3
	v_lshrrev_b32_e32 v23, v17, v24
	global_store_dword v[15:16], v6, off
	v_cndmask_b32_e32 v8, v8, v20, vcc_lo
	v_cmp_gt_i32_e32 vcc_lo, 31, v21
	v_mul_f16_sdwa v18, v101, v25 dst_sel:DWORD dst_unused:UNUSED_PAD src0_sel:WORD_1 src1_sel:DWORD
	v_lshlrev_b32_e32 v17, v17, v23
	v_and_or_b32 v11, 0x1ff, v12, v11
	v_cndmask_b32_e32 v1, 0x7c00, v1, vcc_lo
	v_cmp_ne_u32_e32 vcc_lo, 0, v13
	v_fmac_f16_e32 v18, v101, v3
	v_bfe_u32 v26, v12, 20, 11
	v_mul_f16_sdwa v3, v101, v3 dst_sel:DWORD dst_unused:UNUSED_PAD src0_sel:WORD_1 src1_sel:DWORD
	v_and_or_b32 v8, 0x8000, v10, v8
	v_cndmask_b32_e64 v13, 0, 1, vcc_lo
	v_cmp_ne_u32_e32 vcc_lo, v17, v24
	v_cvt_f32_f16_e32 v17, v18
	v_lshrrev_b32_e32 v24, 8, v12
	v_fma_f16 v3, v101, v25, -v3
	v_lshl_or_b32 v13, v13, 9, 0x7c00
	v_cndmask_b32_e64 v20, 0, 1, vcc_lo
	v_cmp_ne_u32_e32 vcc_lo, 0, v11
	v_cvt_f64_f32_e32 v[17:18], v17
	v_cvt_f32_f16_e32 v3, v3
	v_and_b32_e32 v8, 0xffff, v8
	v_or_b32_e32 v20, v23, v20
	v_cndmask_b32_e64 v11, 0, 1, vcc_lo
	v_lshl_or_b32 v23, v22, 12, v19
	v_cmp_gt_i32_e32 vcc_lo, 1, v22
	v_and_or_b32 v24, 0xffe, v24, v11
	v_sub_nc_u32_e32 v11, 0x3f1, v26
	v_cndmask_b32_e32 v20, v23, v20, vcc_lo
	v_cmp_eq_u32_e32 vcc_lo, 0x40f, v21
	v_or_b32_e32 v27, 0x1000, v24
	v_med3_i32 v11, v11, 0, 13
	v_and_b32_e32 v23, 7, v20
	v_cndmask_b32_e32 v1, v1, v13, vcc_lo
	v_lshrrev_b32_e32 v13, 16, v14
	v_lshrrev_b32_e32 v21, v11, v27
	v_cmp_lt_i32_e32 vcc_lo, 5, v23
	v_and_or_b32 v1, 0x8000, v13, v1
	v_cvt_f64_f32_e32 v[13:14], v3
	v_lshlrev_b32_e32 v25, v11, v21
	v_mul_f64 v[10:11], v[17:18], s[6:7]
	v_lshrrev_b32_e32 v18, 2, v20
	v_add_nc_u32_e32 v17, 0xfffffc10, v26
	v_lshl_or_b32 v1, v1, 16, v8
	v_cmp_ne_u32_e64 s0, v25, v27
	v_lshl_or_b32 v20, v17, 12, v24
	v_cndmask_b32_e64 v3, 0, 1, s0
	v_cmp_eq_u32_e64 s0, 3, v23
	v_or_b32_e32 v3, v21, v3
	s_or_b32 vcc_lo, s0, vcc_lo
	v_add_co_ci_u32_e32 v18, vcc_lo, 0, v18, vcc_lo
	v_cmp_ne_u32_e32 vcc_lo, 0, v19
	v_mul_f64 v[13:14], v[13:14], s[6:7]
	v_and_or_b32 v8, 0x1ff, v11, v10
	v_lshrrev_b32_e32 v28, 16, v11
	v_cndmask_b32_e64 v19, 0, 1, vcc_lo
	v_cmp_gt_i32_e32 vcc_lo, 1, v17
	v_cmp_ne_u32_e64 s0, 0, v8
	v_lshl_or_b32 v19, v19, 9, 0x7c00
	v_cndmask_b32_e32 v3, v20, v3, vcc_lo
	v_cmp_gt_i32_e32 vcc_lo, 31, v22
	v_cndmask_b32_e64 v8, 0, 1, s0
	v_lshrrev_b32_e32 v20, 16, v5
	v_and_b32_e32 v6, 7, v3
	v_cndmask_b32_e32 v18, 0x7c00, v18, vcc_lo
	v_cmp_eq_u32_e32 vcc_lo, 0x40f, v22
	v_lshrrev_b32_e32 v3, 2, v3
	v_cmp_eq_u32_e64 s0, 3, v6
	v_cndmask_b32_e32 v10, v18, v19, vcc_lo
	v_cmp_lt_i32_e32 vcc_lo, 5, v6
	v_lshrrev_b32_e32 v18, 16, v9
	v_lshrrev_b32_e32 v9, 8, v11
	v_bfe_u32 v19, v11, 20, 11
	v_lshrrev_b32_e32 v25, 8, v14
	s_or_b32 vcc_lo, s0, vcc_lo
	v_bfe_u32 v26, v14, 20, 11
	v_add_co_ci_u32_e32 v3, vcc_lo, 0, v3, vcc_lo
	v_and_or_b32 v21, 0xffe, v9, v8
	v_sub_nc_u32_e32 v6, 0x3f1, v19
	v_and_or_b32 v9, 0x1ff, v14, v13
	v_cmp_ne_u32_e32 vcc_lo, 0, v24
	v_mul_f16_sdwa v8, v100, v20 dst_sel:DWORD dst_unused:UNUSED_PAD src0_sel:WORD_1 src1_sel:DWORD
	v_or_b32_e32 v22, 0x1000, v21
	v_med3_i32 v6, v6, 0, 13
	v_and_or_b32 v10, 0x8000, v18, v10
	v_cndmask_b32_e64 v13, 0, 1, vcc_lo
	v_cmp_ne_u32_e32 vcc_lo, 0, v9
	v_fmac_f16_e32 v8, v100, v5
	v_lshrrev_b32_e32 v23, v6, v22
	v_sub_nc_u32_e32 v18, 0x3f1, v26
	v_lshl_or_b32 v13, v13, 9, 0x7c00
	v_cndmask_b32_e64 v24, 0, 1, vcc_lo
	v_cmp_gt_i32_e32 vcc_lo, 31, v17
	v_cvt_f32_f16_e32 v8, v8
	v_lshlrev_b32_e32 v6, v6, v23
	v_mul_f16_sdwa v5, v100, v5 dst_sel:DWORD dst_unused:UNUSED_PAD src0_sel:WORD_1 src1_sel:DWORD
	v_and_or_b32 v24, 0xffe, v25, v24
	v_cndmask_b32_e32 v3, 0x7c00, v3, vcc_lo
	v_cmp_eq_u32_e32 vcc_lo, 0x40f, v17
	v_cvt_f64_f32_e32 v[8:9], v8
	v_add_nc_u32_e32 v19, 0xfffffc10, v19
	v_or_b32_e32 v17, 0x1000, v24
	v_med3_i32 v18, v18, 0, 13
	v_cndmask_b32_e32 v3, v3, v13, vcc_lo
	v_cmp_ne_u32_e32 vcc_lo, v6, v22
	v_fma_f16 v5, v100, v20, -v5
	v_lshrrev_b32_e32 v20, 16, v12
	v_lshl_or_b32 v13, v19, 12, v21
	v_and_b32_e32 v10, 0xffff, v10
	v_cndmask_b32_e64 v6, 0, 1, vcc_lo
	v_cmp_gt_i32_e32 vcc_lo, 1, v19
	v_cvt_f32_f16_e32 v22, v5
	v_and_or_b32 v3, 0x8000, v20, v3
	v_add_nc_u32_e32 v20, 0xfffffc10, v26
	v_or_b32_e32 v12, v23, v6
	v_lshrrev_b32_e32 v23, v18, v17
	v_lshl_or_b32 v3, v3, 16, v10
	v_cndmask_b32_e32 v25, v13, v12, vcc_lo
	v_add_co_u32 v12, vcc_lo, v15, s4
	v_lshlrev_b32_e32 v15, v18, v23
	v_add_co_ci_u32_e32 v13, vcc_lo, s3, v16, vcc_lo
	v_mul_f64 v[5:6], v[8:9], s[6:7]
	v_cvt_f64_f32_e32 v[8:9], v22
	v_and_b32_e32 v16, 7, v25
	v_cmp_ne_u32_e32 vcc_lo, v15, v17
	global_store_dword v[12:13], v1, off
	v_lshrrev_b32_e32 v10, 2, v25
	v_lshl_or_b32 v17, v20, 12, v24
	v_cmp_eq_u32_e64 s0, 3, v16
	v_cndmask_b32_e64 v1, 0, 1, vcc_lo
	v_cmp_lt_i32_e32 vcc_lo, 5, v16
	v_or_b32_e32 v1, v23, v1
	s_or_b32 vcc_lo, s0, vcc_lo
	v_add_co_ci_u32_e32 v10, vcc_lo, 0, v10, vcc_lo
	v_cmp_ne_u32_e32 vcc_lo, 0, v21
	v_and_or_b32 v5, 0x1ff, v6, v5
	v_cndmask_b32_e64 v18, 0, 1, vcc_lo
	v_add_co_u32 v12, vcc_lo, v12, s4
	v_add_co_ci_u32_e32 v13, vcc_lo, s3, v13, vcc_lo
	v_cmp_gt_i32_e32 vcc_lo, 1, v20
	v_mul_f64 v[15:16], v[8:9], s[6:7]
	ds_read2_b32 v[8:9], v104 offset0:122 offset1:247
	v_lshl_or_b32 v18, v18, 9, 0x7c00
	v_bfe_u32 v21, v6, 20, 11
	v_cndmask_b32_e32 v1, v17, v1, vcc_lo
	v_cmp_gt_i32_e32 vcc_lo, 31, v19
	v_lshrrev_b32_e32 v17, 8, v6
	global_store_dword v[12:13], v3, off
	v_and_b32_e32 v22, 7, v1
	v_cndmask_b32_e32 v10, 0x7c00, v10, vcc_lo
	v_cmp_ne_u32_e32 vcc_lo, 0, v5
	v_lshrrev_b32_e32 v1, 2, v1
	v_cmp_eq_u32_e64 s0, 3, v22
	v_cndmask_b32_e64 v5, 0, 1, vcc_lo
	v_cmp_eq_u32_e32 vcc_lo, 0x40f, v19
	s_waitcnt lgkmcnt(0)
	v_lshrrev_b32_e32 v23, 16, v8
	v_cndmask_b32_e32 v19, v10, v18, vcc_lo
	v_cmp_lt_i32_e32 vcc_lo, 5, v22
	v_and_or_b32 v3, 0xffe, v17, v5
	v_sub_nc_u32_e32 v5, 0x3f1, v21
	v_mul_f16_sdwa v17, v98, v23 dst_sel:DWORD dst_unused:UNUSED_PAD src0_sel:WORD_1 src1_sel:DWORD
	v_and_or_b32 v15, 0x1ff, v16, v15
	s_or_b32 vcc_lo, s0, vcc_lo
	v_or_b32_e32 v10, 0x1000, v3
	v_add_co_ci_u32_e32 v1, vcc_lo, 0, v1, vcc_lo
	v_med3_i32 v5, v5, 0, 13
	v_cmp_ne_u32_e32 vcc_lo, 0, v24
	v_fmac_f16_e32 v17, v98, v8
	v_lshrrev_b32_e32 v25, 8, v16
	v_bfe_u32 v26, v16, 20, 11
	v_lshrrev_b32_e32 v22, v5, v10
	v_cndmask_b32_e64 v24, 0, 1, vcc_lo
	v_cmp_ne_u32_e32 vcc_lo, 0, v15
	v_cvt_f32_f16_e32 v17, v17
	v_add_nc_u32_e32 v21, 0xfffffc10, v21
	v_lshlrev_b32_e32 v5, v5, v22
	v_mul_f16_sdwa v8, v98, v8 dst_sel:DWORD dst_unused:UNUSED_PAD src0_sel:WORD_1 src1_sel:DWORD
	v_cndmask_b32_e64 v15, 0, 1, vcc_lo
	v_cmp_gt_i32_e32 vcc_lo, 31, v20
	v_cvt_f64_f32_e32 v[17:18], v17
	v_lshrrev_b32_e32 v16, 16, v16
	v_fma_f16 v8, v98, v23, -v8
	v_and_or_b32 v25, 0xffe, v25, v15
	v_cndmask_b32_e32 v1, 0x7c00, v1, vcc_lo
	v_cmp_ne_u32_e32 vcc_lo, v5, v10
	v_sub_nc_u32_e32 v15, 0x3f1, v26
	v_lshl_or_b32 v10, v24, 9, 0x7c00
	v_or_b32_e32 v27, 0x1000, v25
	v_cvt_f32_f16_e32 v8, v8
	v_cndmask_b32_e64 v5, 0, 1, vcc_lo
	v_med3_i32 v15, v15, 0, 13
	v_cmp_gt_i32_e32 vcc_lo, 1, v21
	v_or_b32_e32 v5, v22, v5
	v_lshl_or_b32 v22, v21, 12, v3
	v_lshrrev_b32_e32 v24, v15, v27
	v_cndmask_b32_e32 v5, v22, v5, vcc_lo
	v_cmp_eq_u32_e32 vcc_lo, 0x40f, v20
	v_lshrrev_b32_e32 v20, 16, v14
	v_and_b32_e32 v22, 7, v5
	v_cndmask_b32_e32 v1, v1, v10, vcc_lo
	v_mul_f64 v[10:11], v[17:18], s[6:7]
	v_lshlrev_b32_e32 v17, v15, v24
	v_cvt_f64_f32_e32 v[14:15], v8
	v_cmp_lt_i32_e32 vcc_lo, 5, v22
	v_lshrrev_b32_e32 v5, 2, v5
	v_and_or_b32 v18, 0x8000, v28, v19
	v_cmp_ne_u32_e64 s0, v17, v27
	v_add_nc_u32_e32 v19, 0xfffffc10, v26
	v_and_or_b32 v1, 0x8000, v20, v1
	v_lshrrev_b32_e32 v20, 16, v7
	v_and_b32_e32 v17, 0xffff, v18
	v_cndmask_b32_e64 v8, 0, 1, s0
	v_cmp_eq_u32_e64 s0, 3, v22
	v_lshl_or_b32 v18, v19, 12, v25
	v_mul_f16_sdwa v23, v97, v20 dst_sel:DWORD dst_unused:UNUSED_PAD src0_sel:WORD_1 src1_sel:DWORD
	v_lshl_or_b32 v1, v1, 16, v17
	v_or_b32_e32 v8, v24, v8
	s_or_b32 vcc_lo, s0, vcc_lo
	v_add_co_ci_u32_e32 v5, vcc_lo, 0, v5, vcc_lo
	v_cmp_ne_u32_e32 vcc_lo, 0, v3
	v_and_or_b32 v10, 0x1ff, v11, v10
	v_lshrrev_b32_e32 v17, 8, v11
	v_mul_f64 v[14:15], v[14:15], s[6:7]
	v_fmac_f16_e32 v23, v97, v7
	v_cndmask_b32_e64 v3, 0, 1, vcc_lo
	v_cmp_gt_i32_e32 vcc_lo, 1, v19
	v_mul_f16_sdwa v7, v97, v7 dst_sel:DWORD dst_unused:UNUSED_PAD src0_sel:WORD_1 src1_sel:DWORD
	v_lshl_or_b32 v3, v3, 9, 0x7c00
	v_cndmask_b32_e32 v8, v18, v8, vcc_lo
	v_cmp_gt_i32_e32 vcc_lo, 31, v21
	v_bfe_u32 v18, v11, 20, 11
	v_and_b32_e32 v22, 7, v8
	v_cndmask_b32_e32 v5, 0x7c00, v5, vcc_lo
	v_cmp_ne_u32_e32 vcc_lo, 0, v10
	v_lshrrev_b32_e32 v8, 2, v8
	v_cmp_eq_u32_e64 s0, 3, v22
	v_cndmask_b32_e64 v10, 0, 1, vcc_lo
	v_add_co_u32 v12, vcc_lo, v12, s4
	v_add_co_ci_u32_e32 v13, vcc_lo, s3, v13, vcc_lo
	v_cmp_eq_u32_e32 vcc_lo, 0x40f, v21
	v_and_or_b32 v10, 0xffe, v17, v10
	v_sub_nc_u32_e32 v17, 0x3f1, v18
	v_and_or_b32 v14, 0x1ff, v15, v14
	v_lshrrev_b32_e32 v21, 16, v6
	v_cndmask_b32_e32 v3, v5, v3, vcc_lo
	v_cmp_lt_i32_e32 vcc_lo, 5, v22
	v_or_b32_e32 v24, 0x1000, v10
	v_med3_i32 v17, v17, 0, 13
	v_cvt_f32_f16_e32 v5, v23
	v_bfe_u32 v26, v15, 20, 11
	s_or_b32 vcc_lo, s0, vcc_lo
	v_and_or_b32 v3, 0x8000, v21, v3
	v_add_co_ci_u32_e32 v8, vcc_lo, 0, v8, vcc_lo
	v_cmp_ne_u32_e32 vcc_lo, 0, v25
	v_lshrrev_b32_e32 v23, v17, v24
	v_cvt_f64_f32_e32 v[5:6], v5
	v_lshrrev_b32_e32 v25, 8, v15
	global_store_dword v[12:13], v1, off
	v_cndmask_b32_e64 v22, 0, 1, vcc_lo
	v_cmp_ne_u32_e32 vcc_lo, 0, v14
	v_lshlrev_b32_e32 v17, v17, v23
	v_add_nc_u32_e32 v1, 0xfffffc10, v26
	v_and_b32_e32 v3, 0xffff, v3
	v_lshl_or_b32 v22, v22, 9, 0x7c00
	v_cndmask_b32_e64 v14, 0, 1, vcc_lo
	v_cmp_gt_i32_e32 vcc_lo, 31, v19
	v_and_or_b32 v14, 0xffe, v25, v14
	v_cndmask_b32_e32 v8, 0x7c00, v8, vcc_lo
	v_cmp_ne_u32_e32 vcc_lo, v17, v24
	v_sub_nc_u32_e32 v25, 0x3f1, v26
	v_add_nc_u32_e32 v24, 0xfffffc10, v18
	v_or_b32_e32 v27, 0x1000, v14
	v_cndmask_b32_e64 v17, 0, 1, vcc_lo
	v_med3_i32 v25, v25, 0, 13
	v_lshl_or_b32 v28, v24, 12, v10
	v_cmp_gt_i32_e32 vcc_lo, 1, v24
	v_or_b32_e32 v23, v23, v17
	v_mul_f64 v[17:18], v[5:6], s[6:7]
	v_lshrrev_b32_e32 v5, v25, v27
	v_fma_f16 v6, v97, v20, -v7
	v_cndmask_b32_e32 v7, v28, v23, vcc_lo
	v_cmp_eq_u32_e32 vcc_lo, 0x40f, v19
	v_cvt_f32_f16_e32 v6, v6
	v_and_b32_e32 v21, 7, v7
	v_cndmask_b32_e32 v8, v8, v22, vcc_lo
	v_lshlrev_b32_e32 v22, v25, v5
	v_cvt_f64_f32_e32 v[19:20], v6
	v_cmp_lt_i32_e32 vcc_lo, 5, v21
	v_and_or_b32 v8, 0x8000, v16, v8
	v_cmp_ne_u32_e64 s0, v22, v27
	v_lshrrev_b32_e32 v16, 2, v7
	v_lshl_or_b32 v3, v8, 16, v3
	v_cndmask_b32_e64 v6, 0, 1, s0
	v_cmp_eq_u32_e64 s0, 3, v21
	v_and_or_b32 v17, 0x1ff, v18, v17
	v_lshl_or_b32 v21, v1, 12, v14
	v_or_b32_e32 v5, v5, v6
	s_or_b32 vcc_lo, s0, vcc_lo
	ds_read2_b32 v[6:7], v102 offset0:92 offset1:217
	v_add_co_ci_u32_e32 v22, vcc_lo, 0, v16, vcc_lo
	v_cmp_ne_u32_e32 vcc_lo, 0, v10
	v_cndmask_b32_e64 v10, 0, 1, vcc_lo
	v_cmp_gt_i32_e32 vcc_lo, 1, v1
	v_lshl_or_b32 v10, v10, 9, 0x7c00
	v_cndmask_b32_e32 v5, v21, v5, vcc_lo
	v_cmp_ne_u32_e32 vcc_lo, 0, v17
	v_mul_f64 v[16:17], v[19:20], s[6:7]
	v_lshrrev_b32_e32 v19, 8, v18
	v_bfe_u32 v20, v18, 20, 11
	v_and_b32_e32 v23, 7, v5
	v_cndmask_b32_e64 v21, 0, 1, vcc_lo
	v_cmp_gt_i32_e32 vcc_lo, 31, v24
	s_waitcnt lgkmcnt(0)
	v_lshrrev_b32_e32 v8, 16, v6
	v_lshrrev_b32_e32 v5, 2, v5
	v_cmp_eq_u32_e64 s0, 3, v23
	v_and_or_b32 v19, 0xffe, v19, v21
	v_cndmask_b32_e32 v22, 0x7c00, v22, vcc_lo
	v_cmp_eq_u32_e32 vcc_lo, 0x40f, v24
	v_sub_nc_u32_e32 v21, 0x3f1, v20
	v_add_nc_u32_e32 v20, 0xfffffc10, v20
	v_or_b32_e32 v24, 0x1000, v19
	v_lshrrev_b32_e32 v18, 16, v18
	v_cndmask_b32_e32 v22, v22, v10, vcc_lo
	v_cmp_lt_i32_e32 vcc_lo, 5, v23
	v_med3_i32 v21, v21, 0, 13
	v_mul_f16_sdwa v10, v96, v8 dst_sel:DWORD dst_unused:UNUSED_PAD src0_sel:WORD_1 src1_sel:DWORD
	v_lshrrev_b32_e32 v23, 16, v11
	v_and_or_b32 v16, 0x1ff, v17, v16
	s_or_b32 vcc_lo, s0, vcc_lo
	v_lshrrev_b32_e32 v25, v21, v24
	v_add_co_ci_u32_e32 v5, vcc_lo, 0, v5, vcc_lo
	v_cmp_ne_u32_e32 vcc_lo, 0, v16
	v_fmac_f16_e32 v10, v96, v6
	v_lshlrev_b32_e32 v21, v21, v25
	v_lshrrev_b32_e32 v26, 8, v17
	v_bfe_u32 v27, v17, 20, 11
	v_cndmask_b32_e64 v16, 0, 1, vcc_lo
	v_cmp_ne_u32_e32 vcc_lo, 0, v14
	v_cvt_f32_f16_e32 v10, v10
	v_and_or_b32 v22, 0x8000, v23, v22
	v_mul_f16_sdwa v6, v96, v6 dst_sel:DWORD dst_unused:UNUSED_PAD src0_sel:WORD_1 src1_sel:DWORD
	v_and_or_b32 v16, 0xffe, v26, v16
	v_cndmask_b32_e64 v14, 0, 1, vcc_lo
	v_cmp_ne_u32_e32 vcc_lo, v21, v24
	v_cvt_f64_f32_e32 v[10:11], v10
	v_sub_nc_u32_e32 v24, 0x3f1, v27
	v_or_b32_e32 v26, 0x1000, v16
	v_lshl_or_b32 v14, v14, 9, 0x7c00
	v_cndmask_b32_e64 v21, 0, 1, vcc_lo
	v_cmp_gt_i32_e32 vcc_lo, 31, v1
	v_med3_i32 v24, v24, 0, 13
	v_fma_f16 v8, v96, v8, -v6
	v_lshrrev_b32_e32 v17, 16, v17
	v_or_b32_e32 v21, v25, v21
	v_cndmask_b32_e32 v5, 0x7c00, v5, vcc_lo
	v_lshl_or_b32 v25, v20, 12, v19
	v_cmp_gt_i32_e32 vcc_lo, 1, v20
	v_lshrrev_b32_e32 v23, v24, v26
	v_cvt_f32_f16_e32 v8, v8
	v_cndmask_b32_e32 v21, v25, v21, vcc_lo
	v_cmp_eq_u32_e32 vcc_lo, 0x40f, v1
	v_add_nc_u32_e32 v25, 0xfffffc10, v27
	v_mul_f64 v[10:11], v[10:11], s[6:7]
	v_cndmask_b32_e32 v1, v5, v14, vcc_lo
	v_lshrrev_b32_e32 v14, 16, v15
	v_lshlrev_b32_e32 v15, v24, v23
	v_and_b32_e32 v24, 7, v21
	v_add_co_u32 v5, vcc_lo, v12, s4
	v_add_co_ci_u32_e32 v6, vcc_lo, s3, v13, vcc_lo
	v_cmp_ne_u32_e64 s0, v15, v26
	v_and_or_b32 v1, 0x8000, v14, v1
	v_cmp_lt_i32_e32 vcc_lo, 5, v24
	v_cvt_f64_f32_e32 v[12:13], v8
	v_lshrrev_b32_e32 v8, 2, v21
	v_cndmask_b32_e64 v14, 0, 1, s0
	v_cmp_eq_u32_e64 s0, 3, v24
	v_lshl_or_b32 v15, v25, 12, v16
	v_and_b32_e32 v21, 0xffff, v22
	global_store_dword v[5:6], v3, off
	v_or_b32_e32 v14, v23, v14
	s_or_b32 vcc_lo, s0, vcc_lo
	v_add_co_ci_u32_e32 v8, vcc_lo, 0, v8, vcc_lo
	v_cmp_ne_u32_e32 vcc_lo, 0, v19
	v_and_or_b32 v10, 0x1ff, v11, v10
	v_lshrrev_b32_e32 v22, 8, v11
	v_bfe_u32 v23, v11, 20, 11
	v_lshl_or_b32 v1, v1, 16, v21
	v_cndmask_b32_e64 v19, 0, 1, vcc_lo
	v_cmp_gt_i32_e32 vcc_lo, 1, v25
	v_lshrrev_b32_e32 v27, 16, v11
	v_mul_f64 v[12:13], v[12:13], s[6:7]
	v_cndmask_b32_e32 v14, v15, v14, vcc_lo
	v_cmp_gt_i32_e32 vcc_lo, 31, v20
	v_lshl_or_b32 v15, v19, 9, 0x7c00
	v_and_b32_e32 v19, 7, v14
	v_cndmask_b32_e32 v8, 0x7c00, v8, vcc_lo
	v_cmp_ne_u32_e32 vcc_lo, 0, v10
	v_lshrrev_b32_e32 v14, 2, v14
	v_cmp_eq_u32_e64 s0, 3, v19
	v_cndmask_b32_e64 v10, 0, 1, vcc_lo
	v_cmp_eq_u32_e32 vcc_lo, 0x40f, v20
	v_cndmask_b32_e32 v3, v8, v15, vcc_lo
	v_cmp_lt_i32_e32 vcc_lo, 5, v19
	v_and_or_b32 v8, 0xffe, v22, v10
	v_lshrrev_b32_e32 v10, 16, v4
	v_sub_nc_u32_e32 v15, 0x3f1, v23
	v_and_or_b32 v12, 0x1ff, v13, v12
	s_or_b32 vcc_lo, s0, vcc_lo
	v_or_b32_e32 v19, 0x1000, v8
	v_add_co_ci_u32_e32 v14, vcc_lo, 0, v14, vcc_lo
	v_mul_f16_sdwa v20, v94, v10 dst_sel:DWORD dst_unused:UNUSED_PAD src0_sel:WORD_1 src1_sel:DWORD
	v_med3_i32 v15, v15, 0, 13
	v_cmp_ne_u32_e32 vcc_lo, 0, v16
	v_and_or_b32 v3, 0x8000, v18, v3
	v_lshrrev_b32_e32 v18, 8, v13
	v_fmac_f16_e32 v20, v94, v4
	v_lshrrev_b32_e32 v22, v15, v19
	v_cndmask_b32_e64 v16, 0, 1, vcc_lo
	v_cmp_gt_i32_e32 vcc_lo, 31, v25
	v_add_nc_u32_e32 v23, 0xfffffc10, v23
	v_cvt_f32_f16_e32 v20, v20
	v_lshlrev_b32_e32 v26, v15, v22
	v_lshl_or_b32 v16, v16, 9, 0x7c00
	v_cndmask_b32_e32 v24, 0x7c00, v14, vcc_lo
	v_cmp_ne_u32_e32 vcc_lo, 0, v12
	v_cvt_f64_f32_e32 v[14:15], v20
	v_bfe_u32 v20, v13, 20, 11
	v_mul_f16_sdwa v4, v94, v4 dst_sel:DWORD dst_unused:UNUSED_PAD src0_sel:WORD_1 src1_sel:DWORD
	v_cndmask_b32_e64 v12, 0, 1, vcc_lo
	v_cmp_ne_u32_e32 vcc_lo, v26, v19
	v_fma_f16 v10, v94, v10, -v4
	v_and_or_b32 v12, 0xffe, v18, v12
	v_cndmask_b32_e64 v19, 0, 1, vcc_lo
	v_sub_nc_u32_e32 v18, 0x3f1, v20
	v_cmp_eq_u32_e32 vcc_lo, 0x40f, v25
	v_or_b32_e32 v19, v22, v19
	v_med3_i32 v18, v18, 0, 13
	v_cndmask_b32_e32 v16, v24, v16, vcc_lo
	v_or_b32_e32 v24, 0x1000, v12
	v_lshl_or_b32 v22, v23, 12, v8
	v_cmp_gt_i32_e32 vcc_lo, 1, v23
	v_and_or_b32 v16, 0x8000, v17, v16
	v_lshrrev_b32_e32 v21, v18, v24
	v_and_b32_e32 v17, 0xffff, v3
	v_cndmask_b32_e32 v19, v22, v19, vcc_lo
	v_add_co_u32 v3, vcc_lo, v5, s5
	v_lshlrev_b32_e32 v18, v18, v21
	v_add_co_ci_u32_e32 v4, vcc_lo, s2, v6, vcc_lo
	v_and_b32_e32 v22, 7, v19
	v_mul_f64 v[14:15], v[14:15], s[6:7]
	v_cmp_ne_u32_e32 vcc_lo, v18, v24
	v_cvt_f32_f16_e32 v5, v10
	v_lshrrev_b32_e32 v10, 2, v19
	v_cmp_eq_u32_e64 s0, 3, v22
	v_add_nc_u32_e32 v18, 0xfffffc10, v20
	v_cndmask_b32_e64 v6, 0, 1, vcc_lo
	v_cmp_lt_i32_e32 vcc_lo, 5, v22
	v_lshl_or_b32 v25, v16, 16, v17
	v_cvt_f64_f32_e32 v[16:17], v5
	v_lshl_or_b32 v20, v18, 12, v12
	v_or_b32_e32 v19, v21, v6
	s_or_b32 vcc_lo, s0, vcc_lo
	ds_read2_b32 v[5:6], v99 offset0:62 offset1:187
	v_add_co_ci_u32_e32 v10, vcc_lo, 0, v10, vcc_lo
	v_cmp_gt_i32_e32 vcc_lo, 1, v18
	global_store_dword v[3:4], v1, off
	v_cndmask_b32_e32 v19, v20, v19, vcc_lo
	v_cmp_ne_u32_e32 vcc_lo, 0, v8
	v_and_or_b32 v14, 0x1ff, v15, v14
	v_lshrrev_b32_e32 v21, 8, v15
	v_bfe_u32 v22, v15, 20, 11
	v_and_b32_e32 v20, 7, v19
	v_cndmask_b32_e64 v8, 0, 1, vcc_lo
	v_cmp_gt_i32_e32 vcc_lo, 31, v23
	v_lshrrev_b32_e32 v19, 2, v19
	v_lshrrev_b32_e32 v15, 16, v15
	v_cmp_eq_u32_e64 s0, 3, v20
	v_mul_f64 v[16:17], v[16:17], s[6:7]
	v_cndmask_b32_e32 v10, 0x7c00, v10, vcc_lo
	v_cmp_ne_u32_e32 vcc_lo, 0, v14
	v_lshl_or_b32 v8, v8, 9, 0x7c00
	s_waitcnt lgkmcnt(0)
	v_lshrrev_b32_e32 v24, 16, v5
	v_cndmask_b32_e64 v14, 0, 1, vcc_lo
	v_cmp_lt_i32_e32 vcc_lo, 5, v20
	v_mul_f16_sdwa v26, v93, v24 dst_sel:DWORD dst_unused:UNUSED_PAD src0_sel:WORD_1 src1_sel:DWORD
	v_and_or_b32 v14, 0xffe, v21, v14
	s_or_b32 vcc_lo, s0, vcc_lo
	v_sub_nc_u32_e32 v21, 0x3f1, v22
	v_add_co_ci_u32_e32 v19, vcc_lo, 0, v19, vcc_lo
	v_cmp_eq_u32_e32 vcc_lo, 0x40f, v23
	v_or_b32_e32 v20, 0x1000, v14
	v_med3_i32 v21, v21, 0, 13
	v_fmac_f16_e32 v26, v93, v5
	v_cndmask_b32_e32 v8, v10, v8, vcc_lo
	v_cmp_ne_u32_e32 vcc_lo, 0, v12
	v_lshrrev_b32_e32 v12, v21, v20
	v_cvt_f32_f16_e32 v23, v26
	v_and_or_b32 v16, 0x1ff, v17, v16
	v_and_or_b32 v8, 0x8000, v27, v8
	v_cndmask_b32_e64 v10, 0, 1, vcc_lo
	v_cmp_gt_i32_e32 vcc_lo, 31, v18
	v_lshlrev_b32_e32 v21, v21, v12
	v_and_b32_e32 v8, 0xffff, v8
	v_lshl_or_b32 v26, v10, 9, 0x7c00
	v_cndmask_b32_e32 v19, 0x7c00, v19, vcc_lo
	v_cmp_eq_u32_e32 vcc_lo, 0x40f, v18
	v_cvt_f64_f32_e32 v[10:11], v23
	v_bfe_u32 v23, v17, 20, 11
	v_cndmask_b32_e32 v18, v19, v26, vcc_lo
	v_cmp_ne_u32_e32 vcc_lo, 0, v16
	v_lshrrev_b32_e32 v19, 8, v17
	v_cndmask_b32_e64 v16, 0, 1, vcc_lo
	v_cmp_ne_u32_e32 vcc_lo, v21, v20
	v_add_nc_u32_e32 v21, 0xfffffc10, v22
	v_lshrrev_b32_e32 v22, 16, v13
	v_and_or_b32 v16, 0xffe, v19, v16
	v_cndmask_b32_e64 v20, 0, 1, vcc_lo
	v_sub_nc_u32_e32 v19, 0x3f1, v23
	v_lshl_or_b32 v26, v21, 12, v14
	v_and_or_b32 v18, 0x8000, v22, v18
	v_or_b32_e32 v28, 0x1000, v16
	v_or_b32_e32 v20, v12, v20
	v_add_co_u32 v12, vcc_lo, v3, s4
	v_add_co_ci_u32_e32 v13, vcc_lo, s3, v4, vcc_lo
	v_cmp_gt_i32_e32 vcc_lo, 1, v21
	v_med3_i32 v19, v19, 0, 13
	v_mul_f64 v[10:11], v[10:11], s[6:7]
	v_mul_f16_sdwa v4, v93, v5 dst_sel:DWORD dst_unused:UNUSED_PAD src0_sel:WORD_1 src1_sel:DWORD
	v_lshl_or_b32 v5, v18, 16, v8
	v_cndmask_b32_e32 v20, v26, v20, vcc_lo
	v_lshrrev_b32_e32 v22, v19, v28
	v_add_nc_u32_e32 v8, 0xfffffc10, v23
	global_store_dword v[12:13], v25, off
	v_lshrrev_b32_e32 v25, 16, v9
	v_and_b32_e32 v1, 7, v20
	v_lshlrev_b32_e32 v3, v19, v22
	v_cmp_lt_i32_e32 vcc_lo, 5, v1
	v_cmp_eq_u32_e64 s0, 3, v1
	v_fma_f16 v1, v93, v24, -v4
	v_lshrrev_b32_e32 v4, 2, v20
	v_cmp_ne_u32_e64 s1, v3, v28
	s_or_b32 vcc_lo, s0, vcc_lo
	v_cvt_f32_f16_e32 v1, v1
	v_add_co_ci_u32_e32 v18, vcc_lo, 0, v4, vcc_lo
	v_cndmask_b32_e64 v3, 0, 1, s1
	v_cmp_ne_u32_e32 vcc_lo, 0, v14
	v_and_or_b32 v10, 0x1ff, v11, v10
	v_cmp_eq_u32_e64 s1, 0x40f, v21
	v_lshrrev_b32_e32 v27, 16, v11
	v_or_b32_e32 v19, v22, v3
	v_cvt_f64_f32_e32 v[3:4], v1
	v_lshl_or_b32 v1, v8, 12, v16
	v_cndmask_b32_e64 v14, 0, 1, vcc_lo
	v_cmp_gt_i32_e32 vcc_lo, 1, v8
	v_bfe_u32 v22, v11, 20, 11
	v_lshl_or_b32 v14, v14, 9, 0x7c00
	v_cndmask_b32_e32 v1, v1, v19, vcc_lo
	v_cmp_gt_i32_e32 vcc_lo, 31, v21
	v_sub_nc_u32_e32 v24, 0x3f1, v22
	v_and_b32_e32 v23, 7, v1
	v_cndmask_b32_e32 v20, 0x7c00, v18, vcc_lo
	v_cmp_ne_u32_e32 vcc_lo, 0, v10
	v_lshrrev_b32_e32 v18, 8, v11
	v_lshrrev_b32_e32 v1, 2, v1
	v_cmp_eq_u32_e64 s0, 3, v23
	v_cndmask_b32_e64 v14, v20, v14, s1
	v_cndmask_b32_e64 v10, 0, 1, vcc_lo
	v_add_co_u32 v12, vcc_lo, v12, s4
	v_add_co_ci_u32_e32 v13, vcc_lo, s3, v13, vcc_lo
	v_and_or_b32 v10, 0xffe, v18, v10
	v_cmp_lt_i32_e32 vcc_lo, 5, v23
	v_mul_f64 v[18:19], v[3:4], s[6:7]
	v_mul_f16_sdwa v3, v91, v25 dst_sel:DWORD dst_unused:UNUSED_PAD src0_sel:WORD_1 src1_sel:DWORD
	v_med3_i32 v4, v24, 0, 13
	v_or_b32_e32 v23, 0x1000, v10
	s_or_b32 vcc_lo, s0, vcc_lo
	v_and_or_b32 v14, 0x8000, v15, v14
	v_fmac_f16_e32 v3, v91, v9
	v_add_co_ci_u32_e32 v1, vcc_lo, 0, v1, vcc_lo
	v_lshrrev_b32_e32 v20, v4, v23
	v_cmp_ne_u32_e32 vcc_lo, 0, v16
	v_cvt_f32_f16_e32 v3, v3
	global_store_dword v[12:13], v5, off
	v_lshlrev_b32_e32 v21, v4, v20
	v_cndmask_b32_e64 v16, 0, 1, vcc_lo
	v_cmp_gt_i32_e32 vcc_lo, 31, v8
	v_cvt_f64_f32_e32 v[3:4], v3
	v_lshl_or_b32 v16, v16, 9, 0x7c00
	v_cndmask_b32_e32 v1, 0x7c00, v1, vcc_lo
	v_cmp_ne_u32_e32 vcc_lo, v21, v23
	v_and_or_b32 v18, 0x1ff, v19, v18
	v_add_nc_u32_e32 v21, 0xfffffc10, v22
	v_cndmask_b32_e64 v15, 0, 1, vcc_lo
	v_cmp_eq_u32_e32 vcc_lo, 0x40f, v8
	v_lshrrev_b32_e32 v8, 16, v17
	v_lshrrev_b32_e32 v17, 8, v19
	v_cndmask_b32_e32 v1, v1, v16, vcc_lo
	v_cmp_ne_u32_e32 vcc_lo, 0, v18
	v_or_b32_e32 v16, v20, v15
	v_bfe_u32 v18, v19, 20, 11
	v_lshl_or_b32 v20, v21, 12, v10
	v_and_or_b32 v1, 0x8000, v8, v1
	v_cndmask_b32_e64 v15, 0, 1, vcc_lo
	v_and_b32_e32 v8, 0xffff, v14
	v_cmp_gt_i32_e32 vcc_lo, 1, v21
	v_lshrrev_b32_e32 v19, 16, v19
	v_and_or_b32 v22, 0xffe, v17, v15
	v_mul_f64 v[14:15], v[3:4], s[6:7]
	v_sub_nc_u32_e32 v17, 0x3f1, v18
	v_mul_f16_sdwa v3, v91, v9 dst_sel:DWORD dst_unused:UNUSED_PAD src0_sel:WORD_1 src1_sel:DWORD
	v_cndmask_b32_e32 v16, v20, v16, vcc_lo
	v_or_b32_e32 v20, 0x1000, v22
	v_lshl_or_b32 v1, v1, 16, v8
	v_med3_i32 v17, v17, 0, 13
	v_fma_f16 v3, v91, v25, -v3
	v_and_b32_e32 v23, 7, v16
	v_add_co_u32 v8, vcc_lo, v12, s4
	v_lshrrev_b32_e32 v24, v17, v20
	v_cvt_f32_f16_e32 v3, v3
	v_add_co_ci_u32_e32 v9, vcc_lo, s3, v13, vcc_lo
	v_cmp_lt_i32_e32 vcc_lo, 5, v23
	v_cmp_eq_u32_e64 s0, 3, v23
	v_cvt_f64_f32_e32 v[12:13], v3
	v_lshlrev_b32_e32 v3, v17, v24
	global_store_dword v[8:9], v1, off
	v_lshrrev_b32_e32 v1, 2, v16
	ds_read2_b32 v[4:5], v95 offset0:104 offset1:229
	v_and_or_b32 v14, 0x1ff, v15, v14
	v_cmp_ne_u32_e64 s1, v3, v20
	s_or_b32 vcc_lo, s0, vcc_lo
	v_add_nc_u32_e32 v18, 0xfffffc10, v18
	v_add_co_ci_u32_e32 v1, vcc_lo, 0, v1, vcc_lo
	v_cndmask_b32_e64 v3, 0, 1, s1
	v_cmp_ne_u32_e32 vcc_lo, 0, v14
	v_lshl_or_b32 v16, v18, 12, v22
	v_lshrrev_b32_e32 v17, 8, v15
	v_bfe_u32 v20, v15, 20, 11
	v_or_b32_e32 v3, v24, v3
	v_cndmask_b32_e64 v14, 0, 1, vcc_lo
	v_cmp_gt_i32_e32 vcc_lo, 1, v18
	v_and_or_b32 v14, 0xffe, v17, v14
	v_cndmask_b32_e32 v3, v16, v3, vcc_lo
	v_cmp_ne_u32_e32 vcc_lo, 0, v10
	s_waitcnt lgkmcnt(0)
	v_lshrrev_b32_e32 v23, 16, v4
	v_mul_f64 v[12:13], v[12:13], s[6:7]
	v_sub_nc_u32_e32 v16, 0x3f1, v20
	v_and_b32_e32 v24, 7, v3
	v_cndmask_b32_e64 v10, 0, 1, vcc_lo
	v_cmp_gt_i32_e32 vcc_lo, 31, v21
	v_mul_f16_sdwa v17, v90, v23 dst_sel:DWORD dst_unused:UNUSED_PAD src0_sel:WORD_1 src1_sel:DWORD
	v_lshrrev_b32_e32 v3, 2, v3
	v_cmp_eq_u32_e64 s0, 3, v24
	v_or_b32_e32 v25, 0x1000, v14
	v_cndmask_b32_e32 v1, 0x7c00, v1, vcc_lo
	v_cmp_lt_i32_e32 vcc_lo, 5, v24
	v_med3_i32 v16, v16, 0, 13
	v_fmac_f16_e32 v17, v90, v4
	v_lshl_or_b32 v10, v10, 9, 0x7c00
	v_add_nc_u32_e32 v20, 0xfffffc10, v20
	s_or_b32 vcc_lo, s0, vcc_lo
	v_lshrrev_b32_e32 v26, v16, v25
	v_add_co_ci_u32_e32 v3, vcc_lo, 0, v3, vcc_lo
	v_cmp_ne_u32_e32 vcc_lo, 0, v22
	v_cvt_f32_f16_e32 v17, v17
	v_lshlrev_b32_e32 v24, v16, v26
	v_and_or_b32 v12, 0x1ff, v13, v12
	v_mul_f16_sdwa v4, v90, v4 dst_sel:DWORD dst_unused:UNUSED_PAD src0_sel:WORD_1 src1_sel:DWORD
	v_cndmask_b32_e64 v22, 0, 1, vcc_lo
	v_cmp_eq_u32_e32 vcc_lo, 0x40f, v21
	v_cvt_f64_f32_e32 v[16:17], v17
	v_lshl_or_b32 v21, v22, 9, 0x7c00
	v_cndmask_b32_e32 v1, v1, v10, vcc_lo
	v_cmp_gt_i32_e32 vcc_lo, 31, v18
	v_lshrrev_b32_e32 v22, 8, v13
	v_and_or_b32 v1, 0x8000, v27, v1
	v_cndmask_b32_e32 v3, 0x7c00, v3, vcc_lo
	v_cmp_ne_u32_e32 vcc_lo, v24, v25
	v_bfe_u32 v24, v13, 20, 11
	v_lshrrev_b32_e32 v13, 16, v13
	v_and_b32_e32 v1, 0xffff, v1
	v_cndmask_b32_e64 v10, 0, 1, vcc_lo
	v_cmp_ne_u32_e32 vcc_lo, 0, v12
	v_or_b32_e32 v25, v26, v10
	v_cndmask_b32_e64 v12, 0, 1, vcc_lo
	v_lshl_or_b32 v26, v20, 12, v14
	v_cmp_gt_i32_e32 vcc_lo, 1, v20
	v_mul_f64 v[10:11], v[16:17], s[6:7]
	v_and_or_b32 v12, 0xffe, v22, v12
	v_sub_nc_u32_e32 v22, 0x3f1, v24
	v_cndmask_b32_e32 v16, v26, v25, vcc_lo
	v_cmp_eq_u32_e32 vcc_lo, 0x40f, v18
	v_lshrrev_b32_e32 v25, 16, v7
	v_or_b32_e32 v18, 0x1000, v12
	v_cndmask_b32_e32 v17, v3, v21, vcc_lo
	v_med3_i32 v21, v22, 0, 13
	v_fma_f16 v3, v90, v23, -v4
	v_and_b32_e32 v4, 7, v16
	v_lshrrev_b32_e32 v16, 2, v16
	v_and_or_b32 v17, 0x8000, v19, v17
	v_lshrrev_b32_e32 v22, v21, v18
	v_cvt_f32_f16_e32 v3, v3
	v_cmp_lt_i32_e32 vcc_lo, 5, v4
	v_cmp_eq_u32_e64 s0, 3, v4
	v_lshl_or_b32 v1, v17, 16, v1
	v_lshlrev_b32_e32 v19, v21, v22
	v_cvt_f64_f32_e32 v[3:4], v3
	v_and_or_b32 v10, 0x1ff, v11, v10
	s_or_b32 vcc_lo, s0, vcc_lo
	v_lshrrev_b32_e32 v23, 8, v11
	v_add_co_ci_u32_e32 v16, vcc_lo, 0, v16, vcc_lo
	v_cmp_ne_u32_e32 vcc_lo, v19, v18
	v_add_nc_u32_e32 v19, 0xfffffc10, v24
	v_bfe_u32 v24, v11, 20, 11
	v_cndmask_b32_e64 v18, 0, 1, vcc_lo
	v_cmp_gt_i32_e32 vcc_lo, 31, v20
	v_or_b32_e32 v18, v22, v18
	v_cndmask_b32_e32 v21, 0x7c00, v16, vcc_lo
	v_cmp_ne_u32_e32 vcc_lo, 0, v10
	v_lshl_or_b32 v22, v19, 12, v12
	v_mul_f64 v[16:17], v[3:4], s[6:7]
	v_cndmask_b32_e64 v10, 0, 1, vcc_lo
	v_cmp_ne_u32_e32 vcc_lo, 0, v14
	v_mul_f16_sdwa v4, v89, v25 dst_sel:DWORD dst_unused:UNUSED_PAD src0_sel:WORD_1 src1_sel:DWORD
	v_and_or_b32 v10, 0xffe, v23, v10
	v_cndmask_b32_e64 v3, 0, 1, vcc_lo
	v_cmp_gt_i32_e32 vcc_lo, 1, v19
	v_fmac_f16_e32 v4, v89, v7
	v_mul_f16_sdwa v7, v89, v7 dst_sel:DWORD dst_unused:UNUSED_PAD src0_sel:WORD_1 src1_sel:DWORD
	v_or_b32_e32 v23, 0x1000, v10
	v_lshl_or_b32 v3, v3, 9, 0x7c00
	v_cndmask_b32_e32 v14, v22, v18, vcc_lo
	v_sub_nc_u32_e32 v18, 0x3f1, v24
	v_cmp_eq_u32_e32 vcc_lo, 0x40f, v20
	v_fma_f16 v7, v89, v25, -v7
	v_and_b32_e32 v22, 7, v14
	v_med3_i32 v18, v18, 0, 13
	v_cndmask_b32_e32 v20, v21, v3, vcc_lo
	v_cvt_f32_f16_e32 v3, v4
	v_lshrrev_b32_e32 v14, 2, v14
	v_cmp_lt_i32_e32 vcc_lo, 5, v22
	v_cmp_eq_u32_e64 s0, 3, v22
	v_lshrrev_b32_e32 v21, v18, v23
	v_cvt_f64_f32_e32 v[3:4], v3
	v_lshrrev_b32_e32 v22, 16, v15
	v_and_or_b32 v16, 0x1ff, v17, v16
	s_or_b32 vcc_lo, s0, vcc_lo
	v_lshlrev_b32_e32 v15, v18, v21
	v_add_co_ci_u32_e32 v14, vcc_lo, 0, v14, vcc_lo
	v_cmp_ne_u32_e32 vcc_lo, 0, v12
	v_add_nc_u32_e32 v18, 0xfffffc10, v24
	v_bfe_u32 v24, v17, 20, 11
	v_cvt_f32_f16_e32 v7, v7
	v_and_or_b32 v20, 0x8000, v22, v20
	v_cndmask_b32_e64 v12, 0, 1, vcc_lo
	v_cmp_ne_u32_e32 vcc_lo, v15, v23
	v_lshrrev_b32_e32 v23, 8, v17
	v_and_b32_e32 v20, 0xffff, v20
	v_lshl_or_b32 v12, v12, 9, 0x7c00
	v_cndmask_b32_e64 v15, 0, 1, vcc_lo
	v_cmp_ne_u32_e32 vcc_lo, 0, v16
	v_or_b32_e32 v21, v21, v15
	v_cndmask_b32_e64 v16, 0, 1, vcc_lo
	v_cmp_gt_i32_e32 vcc_lo, 31, v19
	v_and_or_b32 v16, 0xffe, v23, v16
	v_cndmask_b32_e32 v26, 0x7c00, v14, vcc_lo
	v_mul_f64 v[14:15], v[3:4], s[6:7]
	v_lshl_or_b32 v3, v18, 12, v10
	v_cmp_gt_i32_e32 vcc_lo, 1, v18
	v_sub_nc_u32_e32 v23, 0x3f1, v24
	v_or_b32_e32 v4, 0x1000, v16
	v_cndmask_b32_e32 v3, v3, v21, vcc_lo
	v_cmp_eq_u32_e32 vcc_lo, 0x40f, v19
	v_med3_i32 v23, v23, 0, 13
	v_and_b32_e32 v21, 7, v3
	v_cndmask_b32_e32 v12, v26, v12, vcc_lo
	v_lshrrev_b32_e32 v19, v23, v4
	v_lshrrev_b32_e32 v3, 2, v3
	v_cmp_lt_i32_e32 vcc_lo, 5, v21
	v_and_or_b32 v22, 0x8000, v13, v12
	v_cvt_f64_f32_e32 v[12:13], v7
	v_lshlrev_b32_e32 v23, v23, v19
	v_cmp_eq_u32_e64 s0, 3, v21
	v_and_or_b32 v7, 0x1ff, v15, v14
	v_add_nc_u32_e32 v14, 0xfffffc10, v24
	v_lshrrev_b32_e32 v24, 8, v15
	v_cmp_ne_u32_e64 s1, v23, v4
	s_or_b32 vcc_lo, s0, vcc_lo
	v_bfe_u32 v25, v15, 20, 11
	v_add_co_ci_u32_e32 v21, vcc_lo, 0, v3, vcc_lo
	v_cndmask_b32_e64 v4, 0, 1, s1
	v_cmp_ne_u32_e32 vcc_lo, 0, v7
	v_lshl_or_b32 v23, v14, 12, v16
	v_lshl_or_b32 v20, v22, 16, v20
	v_lshrrev_b32_e32 v15, 16, v15
	v_or_b32_e32 v19, v19, v4
	v_cndmask_b32_e64 v7, 0, 1, vcc_lo
	v_cmp_ne_u32_e32 vcc_lo, 0, v10
	ds_read2_b32 v[3:4], v92 offset0:74 offset1:199
	v_mul_f64 v[12:13], v[12:13], s[6:7]
	v_cndmask_b32_e64 v10, 0, 1, vcc_lo
	v_cmp_gt_i32_e32 vcc_lo, 1, v14
	v_lshl_or_b32 v10, v10, 9, 0x7c00
	v_cndmask_b32_e32 v19, v23, v19, vcc_lo
	v_and_or_b32 v23, 0xffe, v24, v7
	v_sub_nc_u32_e32 v7, 0x3f1, v25
	v_cmp_gt_i32_e32 vcc_lo, 31, v18
	v_or_b32_e32 v24, 0x1000, v23
	v_med3_i32 v26, v7, 0, 13
	v_cndmask_b32_e32 v21, 0x7c00, v21, vcc_lo
	v_add_co_u32 v7, vcc_lo, v8, s4
	v_add_co_ci_u32_e32 v8, vcc_lo, s3, v9, vcc_lo
	v_and_b32_e32 v9, 7, v19
	v_cmp_eq_u32_e32 vcc_lo, 0x40f, v18
	v_lshrrev_b32_e32 v22, v26, v24
	s_waitcnt lgkmcnt(0)
	v_lshrrev_b32_e32 v27, 16, v3
	v_and_or_b32 v12, 0x1ff, v13, v12
	v_cmp_eq_u32_e64 s0, 3, v9
	v_cndmask_b32_e32 v18, v21, v10, vcc_lo
	v_cmp_lt_i32_e32 vcc_lo, 5, v9
	v_lshrrev_b32_e32 v21, 16, v11
	v_lshlrev_b32_e32 v10, v26, v22
	v_mul_f16_sdwa v11, v88, v27 dst_sel:DWORD dst_unused:UNUSED_PAD src0_sel:WORD_1 src1_sel:DWORD
	v_lshrrev_b32_e32 v9, 2, v19
	s_or_b32 vcc_lo, s0, vcc_lo
	v_add_nc_u32_e32 v19, 0xfffffc10, v25
	v_cmp_ne_u32_e64 s1, v10, v24
	v_fmac_f16_e32 v11, v88, v3
	v_add_co_ci_u32_e32 v24, vcc_lo, 0, v9, vcc_lo
	v_cmp_ne_u32_e32 vcc_lo, 0, v12
	v_cndmask_b32_e64 v10, 0, 1, s1
	v_cvt_f32_f16_e32 v9, v11
	v_lshl_or_b32 v25, v19, 12, v23
	v_lshrrev_b32_e32 v12, 8, v13
	v_cndmask_b32_e64 v11, 0, 1, vcc_lo
	v_cmp_ne_u32_e32 vcc_lo, 0, v16
	v_or_b32_e32 v22, v22, v10
	v_cvt_f64_f32_e32 v[9:10], v9
	v_bfe_u32 v26, v13, 20, 11
	v_mul_f16_sdwa v3, v88, v3 dst_sel:DWORD dst_unused:UNUSED_PAD src0_sel:WORD_1 src1_sel:DWORD
	v_cndmask_b32_e64 v16, 0, 1, vcc_lo
	v_cmp_gt_i32_e32 vcc_lo, 1, v19
	v_and_or_b32 v28, 0xffe, v12, v11
	v_sub_nc_u32_e32 v11, 0x3f1, v26
	v_fma_f16 v3, v88, v27, -v3
	v_lshl_or_b32 v16, v16, 9, 0x7c00
	v_cndmask_b32_e32 v22, v25, v22, vcc_lo
	v_cmp_gt_i32_e32 vcc_lo, 31, v14
	v_med3_i32 v29, v11, 0, 13
	v_or_b32_e32 v25, 0x1000, v28
	v_cvt_f32_f16_e32 v3, v3
	v_and_b32_e32 v30, 7, v22
	v_cndmask_b32_e32 v24, 0x7c00, v24, vcc_lo
	v_add_co_u32 v11, vcc_lo, v7, s5
	v_add_co_ci_u32_e32 v12, vcc_lo, s2, v8, vcc_lo
	v_cmp_eq_u32_e32 vcc_lo, 0x40f, v14
	v_lshrrev_b32_e32 v27, v29, v25
	v_cmp_eq_u32_e64 s0, 3, v30
	v_mul_f64 v[9:10], v[9:10], s[6:7]
	global_store_dword v[7:8], v1, off
	global_store_dword v[11:12], v20, off
	v_cndmask_b32_e32 v14, v24, v16, vcc_lo
	v_lshrrev_b32_e32 v24, 16, v17
	v_cvt_f64_f32_e32 v[16:17], v3
	v_cmp_lt_i32_e32 vcc_lo, 5, v30
	v_and_or_b32 v3, 0x8000, v21, v18
	v_lshrrev_b32_e32 v18, 2, v22
	v_lshlrev_b32_e32 v29, v29, v27
	v_add_nc_u32_e32 v22, 0xfffffc10, v26
	s_or_b32 vcc_lo, s0, vcc_lo
	v_and_or_b32 v14, 0x8000, v24, v14
	v_add_co_ci_u32_e32 v18, vcc_lo, 0, v18, vcc_lo
	v_cmp_ne_u32_e64 s1, v29, v25
	v_cmp_ne_u32_e32 vcc_lo, 0, v23
	v_lshl_or_b32 v24, v22, 12, v28
	v_and_b32_e32 v3, 0xffff, v3
	v_lshrrev_b32_e32 v20, 16, v6
	v_cndmask_b32_e64 v21, 0, 1, s1
	v_cndmask_b32_e64 v23, 0, 1, vcc_lo
	v_cmp_gt_i32_e32 vcc_lo, 31, v19
	v_and_or_b32 v9, 0x1ff, v10, v9
	v_lshrrev_b32_e32 v7, 8, v10
	v_or_b32_e32 v21, v27, v21
	v_lshl_or_b32 v23, v23, 9, 0x7c00
	v_cndmask_b32_e32 v18, 0x7c00, v18, vcc_lo
	v_cmp_gt_i32_e32 vcc_lo, 1, v22
	v_mul_f64 v[16:17], v[16:17], s[6:7]
	v_lshl_or_b32 v3, v14, 16, v3
	v_mul_f16_sdwa v8, v87, v20 dst_sel:DWORD dst_unused:UNUSED_PAD src0_sel:WORD_1 src1_sel:DWORD
	v_add_co_u32 v11, s1, v11, s4
	v_cndmask_b32_e32 v21, v24, v21, vcc_lo
	v_cmp_eq_u32_e32 vcc_lo, 0x40f, v19
	v_fmac_f16_e32 v8, v87, v6
	v_add_co_ci_u32_e64 v12, s1, s3, v12, s1
	v_and_b32_e32 v19, 7, v21
	v_cndmask_b32_e32 v18, v18, v23, vcc_lo
	v_cmp_ne_u32_e32 vcc_lo, 0, v9
	v_bfe_u32 v9, v10, 20, 11
	v_lshrrev_b32_e32 v14, 2, v21
	v_cmp_eq_u32_e64 s0, 3, v19
	v_cvt_f32_f16_e32 v8, v8
	v_cndmask_b32_e64 v1, 0, 1, vcc_lo
	v_cmp_lt_i32_e32 vcc_lo, 5, v19
	v_lshrrev_b32_e32 v10, 16, v10
	global_store_dword v[11:12], v3, off
	v_and_or_b32 v1, 0xffe, v7, v1
	v_sub_nc_u32_e32 v7, 0x3f1, v9
	s_or_b32 vcc_lo, s0, vcc_lo
	v_lshrrev_b32_e32 v24, 8, v17
	v_add_co_ci_u32_e32 v14, vcc_lo, 0, v14, vcc_lo
	v_or_b32_e32 v19, 0x1000, v1
	v_med3_i32 v21, v7, 0, 13
	v_and_or_b32 v7, 0x1ff, v17, v16
	v_bfe_u32 v25, v17, 20, 11
	v_lshrrev_b32_e32 v17, 16, v17
	v_lshrrev_b32_e32 v16, v21, v19
	v_cmp_ne_u32_e32 vcc_lo, 0, v7
	v_cvt_f64_f32_e32 v[7:8], v8
	v_lshlrev_b32_e32 v21, v21, v16
	v_cndmask_b32_e64 v23, 0, 1, vcc_lo
	v_cmp_ne_u32_e32 vcc_lo, 0, v28
	v_and_or_b32 v23, 0xffe, v24, v23
	v_cndmask_b32_e64 v26, 0, 1, vcc_lo
	v_cmp_ne_u32_e32 vcc_lo, v21, v19
	v_sub_nc_u32_e32 v24, 0x3f1, v25
	v_add_nc_u32_e32 v21, 0xfffffc10, v9
	v_or_b32_e32 v9, 0x1000, v23
	v_lshl_or_b32 v26, v26, 9, 0x7c00
	v_cndmask_b32_e64 v19, 0, 1, vcc_lo
	v_cmp_gt_i32_e32 vcc_lo, 31, v22
	v_med3_i32 v24, v24, 0, 13
	v_or_b32_e32 v16, v16, v19
	v_cndmask_b32_e32 v14, 0x7c00, v14, vcc_lo
	v_cmp_eq_u32_e32 vcc_lo, 0x40f, v22
	v_lshl_or_b32 v19, v21, 12, v1
	v_lshrrev_b32_e32 v27, v24, v9
	v_mul_f16_sdwa v22, v87, v6 dst_sel:DWORD dst_unused:UNUSED_PAD src0_sel:WORD_1 src1_sel:DWORD
	v_mul_f64 v[6:7], v[7:8], s[6:7]
	v_cndmask_b32_e32 v14, v14, v26, vcc_lo
	v_cmp_gt_i32_e32 vcc_lo, 1, v21
	v_lshrrev_b32_e32 v8, 16, v13
	v_and_or_b32 v13, 0x8000, v15, v18
	v_fma_f16 v15, v87, v20, -v22
	v_cndmask_b32_e32 v16, v19, v16, vcc_lo
	v_lshlrev_b32_e32 v19, v24, v27
	v_and_or_b32 v14, 0x8000, v8, v14
	v_cvt_f32_f16_e32 v8, v15
	v_and_b32_e32 v13, 0xffff, v13
	v_and_b32_e32 v18, 7, v16
	v_cmp_ne_u32_e64 s0, v19, v9
	v_lshrrev_b32_e32 v16, 2, v16
	v_cvt_f64_f32_e32 v[8:9], v8
	v_add_nc_u32_e32 v19, 0xfffffc10, v25
	v_cmp_lt_i32_e32 vcc_lo, 5, v18
	v_cndmask_b32_e64 v15, 0, 1, s0
	v_cmp_eq_u32_e64 s0, 3, v18
	v_lshl_or_b32 v18, v19, 12, v23
	v_and_or_b32 v6, 0x1ff, v7, v6
	v_or_b32_e32 v15, v27, v15
	s_or_b32 vcc_lo, s0, vcc_lo
	v_bfe_u32 v20, v7, 20, 11
	v_add_co_ci_u32_e32 v16, vcc_lo, 0, v16, vcc_lo
	v_cmp_ne_u32_e32 vcc_lo, 0, v1
	v_cndmask_b32_e64 v1, 0, 1, vcc_lo
	v_cmp_gt_i32_e32 vcc_lo, 1, v19
	v_mul_f64 v[8:9], v[8:9], s[6:7]
	v_lshl_or_b32 v1, v1, 9, 0x7c00
	v_cndmask_b32_e32 v15, v18, v15, vcc_lo
	v_cmp_ne_u32_e32 vcc_lo, 0, v6
	v_lshl_or_b32 v18, v14, 16, v13
	v_lshrrev_b32_e32 v13, 8, v7
	v_lshrrev_b32_e32 v7, 16, v7
	v_cndmask_b32_e64 v6, 0, 1, vcc_lo
	v_cmp_gt_i32_e32 vcc_lo, 31, v21
	v_and_or_b32 v6, 0xffe, v13, v6
	v_cndmask_b32_e32 v14, 0x7c00, v16, vcc_lo
	v_and_b32_e32 v16, 7, v15
	v_cmp_eq_u32_e32 vcc_lo, 0x40f, v21
	v_sub_nc_u32_e32 v13, 0x3f1, v20
	v_lshrrev_b32_e32 v15, 2, v15
	v_lshrrev_b32_e32 v21, 16, v2
	v_cmp_eq_u32_e64 s0, 3, v16
	v_cndmask_b32_e32 v1, v14, v1, vcc_lo
	v_cmp_lt_i32_e32 vcc_lo, 5, v16
	v_or_b32_e32 v14, 0x1000, v6
	v_med3_i32 v13, v13, 0, 13
	v_mul_f16_sdwa v16, v86, v21 dst_sel:DWORD dst_unused:UNUSED_PAD src0_sel:WORD_1 src1_sel:DWORD
	v_and_or_b32 v8, 0x1ff, v9, v8
	s_or_b32 vcc_lo, s0, vcc_lo
	v_bfe_u32 v25, v9, 20, 11
	v_add_co_ci_u32_e32 v15, vcc_lo, 0, v15, vcc_lo
	v_lshrrev_b32_e32 v22, v13, v14
	v_cmp_ne_u32_e32 vcc_lo, 0, v23
	v_fmac_f16_e32 v16, v86, v2
	v_add_nc_u32_e32 v20, 0xfffffc10, v20
	v_and_or_b32 v1, 0x8000, v10, v1
	v_lshlrev_b32_e32 v13, v13, v22
	v_cndmask_b32_e64 v23, 0, 1, vcc_lo
	v_cmp_gt_i32_e32 vcc_lo, 31, v19
	v_cvt_f32_f16_e32 v16, v16
	v_mul_f16_sdwa v2, v86, v2 dst_sel:DWORD dst_unused:UNUSED_PAD src0_sel:WORD_1 src1_sel:DWORD
	v_lshl_or_b32 v23, v23, 9, 0x7c00
	v_cndmask_b32_e32 v15, 0x7c00, v15, vcc_lo
	v_cmp_ne_u32_e32 vcc_lo, v13, v14
	v_cvt_f64_f32_e32 v[13:14], v16
	v_lshrrev_b32_e32 v16, 8, v9
	v_cndmask_b32_e64 v24, 0, 1, vcc_lo
	v_cmp_ne_u32_e32 vcc_lo, 0, v8
	v_or_b32_e32 v22, v22, v24
	v_cndmask_b32_e64 v8, 0, 1, vcc_lo
	v_cmp_eq_u32_e32 vcc_lo, 0x40f, v19
	v_lshl_or_b32 v24, v20, 12, v6
	v_and_or_b32 v8, 0xffe, v16, v8
	v_sub_nc_u32_e32 v16, 0x3f1, v25
	v_cndmask_b32_e32 v19, v15, v23, vcc_lo
	v_cmp_gt_i32_e32 vcc_lo, 1, v20
	v_or_b32_e32 v23, 0x1000, v8
	v_med3_i32 v26, v16, 0, 13
	v_mul_f64 v[13:14], v[13:14], s[6:7]
	v_cndmask_b32_e32 v22, v24, v22, vcc_lo
	v_add_co_u32 v15, vcc_lo, v11, s4
	v_lshrrev_b32_e32 v24, v26, v23
	v_and_or_b32 v17, 0x8000, v17, v19
	v_and_b32_e32 v10, 7, v22
	v_add_co_ci_u32_e32 v16, vcc_lo, s3, v12, vcc_lo
	v_lshlrev_b32_e32 v19, v26, v24
	v_and_b32_e32 v26, 0xffff, v1
	v_cmp_lt_i32_e32 vcc_lo, 5, v10
	v_cmp_eq_u32_e64 s0, 3, v10
	v_fma_f16 v1, v86, v21, -v2
	v_lshrrev_b32_e32 v2, 2, v22
	v_cmp_ne_u32_e64 s1, v19, v23
	v_add_nc_u32_e32 v19, 0xfffffc10, v25
	s_or_b32 vcc_lo, s0, vcc_lo
	v_cvt_f32_f16_e32 v1, v1
	v_add_co_ci_u32_e32 v10, vcc_lo, 0, v2, vcc_lo
	v_cndmask_b32_e64 v3, 0, 1, s1
	v_cmp_ne_u32_e32 vcc_lo, 0, v6
	v_lshl_or_b32 v11, v19, 12, v8
	v_cvt_f64_f32_e32 v[1:2], v1
	v_and_or_b32 v12, 0x1ff, v14, v13
	v_or_b32_e32 v3, v24, v3
	v_cndmask_b32_e64 v6, 0, 1, vcc_lo
	v_cmp_gt_i32_e32 vcc_lo, 1, v19
	v_lshrrev_b32_e32 v22, 8, v14
	v_bfe_u32 v23, v14, 20, 11
	v_lshrrev_b32_e32 v24, 16, v5
	v_lshl_or_b32 v17, v17, 16, v26
	v_cndmask_b32_e32 v3, v11, v3, vcc_lo
	v_cmp_gt_i32_e32 vcc_lo, 31, v20
	v_lshl_or_b32 v6, v6, 9, 0x7c00
	v_mul_f16_sdwa v25, v85, v24 dst_sel:DWORD dst_unused:UNUSED_PAD src0_sel:WORD_1 src1_sel:DWORD
	global_store_dword v[15:16], v18, off
	v_and_b32_e32 v13, 7, v3
	v_cndmask_b32_e32 v21, 0x7c00, v10, vcc_lo
	v_cmp_ne_u32_e32 vcc_lo, 0, v12
	v_lshrrev_b32_e32 v3, 2, v3
	v_fmac_f16_e32 v25, v85, v5
	v_cmp_eq_u32_e64 s0, 3, v13
	v_mul_f16_sdwa v5, v85, v5 dst_sel:DWORD dst_unused:UNUSED_PAD src0_sel:WORD_1 src1_sel:DWORD
	v_cndmask_b32_e64 v12, 0, 1, vcc_lo
	v_add_co_u32 v10, vcc_lo, v15, s4
	v_add_co_ci_u32_e32 v11, vcc_lo, s3, v16, vcc_lo
	v_cmp_lt_i32_e32 vcc_lo, 5, v13
	v_and_or_b32 v22, 0xffe, v22, v12
	v_sub_nc_u32_e32 v12, 0x3f1, v23
	v_mul_f64 v[1:2], v[1:2], s[6:7]
	v_cvt_f32_f16_e32 v13, v25
	s_or_b32 vcc_lo, s0, vcc_lo
	v_or_b32_e32 v26, 0x1000, v22
	v_add_co_ci_u32_e32 v3, vcc_lo, 0, v3, vcc_lo
	v_cmp_ne_u32_e32 vcc_lo, 0, v8
	v_med3_i32 v12, v12, 0, 13
	global_store_dword v[10:11], v17, off
	v_fma_f16 v5, v85, v24, -v5
	v_lshrrev_b32_e32 v14, 16, v14
	v_cndmask_b32_e64 v8, 0, 1, vcc_lo
	v_cmp_gt_i32_e32 vcc_lo, 31, v19
	v_lshrrev_b32_e32 v27, v12, v26
	v_cvt_f32_f16_e32 v5, v5
	v_lshl_or_b32 v8, v8, 9, 0x7c00
	v_cndmask_b32_e32 v3, 0x7c00, v3, vcc_lo
	v_cmp_eq_u32_e32 vcc_lo, 0x40f, v20
	v_lshlrev_b32_e32 v25, v12, v27
	v_cvt_f64_f32_e32 v[12:13], v13
	v_and_or_b32 v1, 0x1ff, v2, v1
	v_cndmask_b32_e32 v6, v21, v6, vcc_lo
	v_cmp_eq_u32_e32 vcc_lo, 0x40f, v19
	v_add_nc_u32_e32 v19, 0xfffffc10, v23
	v_bfe_u32 v20, v2, 20, 11
	v_and_or_b32 v6, 0x8000, v7, v6
	v_cndmask_b32_e32 v3, v3, v8, vcc_lo
	v_cmp_ne_u32_e32 vcc_lo, v25, v26
	v_lshrrev_b32_e32 v8, 16, v9
	v_lshrrev_b32_e32 v9, 8, v2
	v_and_b32_e32 v23, 0xffff, v6
	v_lshl_or_b32 v21, v19, 12, v22
	v_cndmask_b32_e64 v7, 0, 1, vcc_lo
	v_cmp_ne_u32_e32 vcc_lo, 0, v1
	v_and_or_b32 v3, 0x8000, v8, v3
	v_lshrrev_b32_e32 v2, 16, v2
	v_or_b32_e32 v8, v27, v7
	v_cndmask_b32_e64 v1, 0, 1, vcc_lo
	v_mul_f64 v[6:7], v[12:13], s[6:7]
	v_cmp_gt_i32_e32 vcc_lo, 1, v19
	v_lshl_or_b32 v3, v3, 16, v23
	v_lshrrev_b32_e32 v23, 16, v4
	v_and_or_b32 v1, 0xffe, v9, v1
	v_sub_nc_u32_e32 v9, 0x3f1, v20
	v_cndmask_b32_e32 v12, v21, v8, vcc_lo
	v_add_co_u32 v8, vcc_lo, v10, s4
	v_or_b32_e32 v13, 0x1000, v1
	v_med3_i32 v21, v9, 0, 13
	v_add_co_ci_u32_e32 v9, vcc_lo, s3, v11, vcc_lo
	v_and_b32_e32 v15, 7, v12
	v_lshrrev_b32_e32 v16, v21, v13
	global_store_dword v[8:9], v3, off
	v_lshrrev_b32_e32 v3, 2, v12
	v_add_nc_u32_e32 v12, 0xfffffc10, v20
	v_cmp_lt_i32_e32 vcc_lo, 5, v15
	v_lshlrev_b32_e32 v10, v21, v16
	v_cmp_eq_u32_e64 s0, 3, v15
	v_and_or_b32 v11, 0x1ff, v7, v6
	v_cvt_f64_f32_e32 v[5:6], v5
	v_lshrrev_b32_e32 v15, 8, v7
	v_cmp_ne_u32_e64 s1, v10, v13
	v_lshrrev_b32_e32 v13, 16, v0
	v_bfe_u32 v17, v7, 20, 11
	s_or_b32 vcc_lo, s0, vcc_lo
	v_cndmask_b32_e64 v10, 0, 1, s1
	v_cmp_ne_u32_e64 s1, 0, v11
	v_mul_f16_sdwa v18, v84, v13 dst_sel:DWORD dst_unused:UNUSED_PAD src0_sel:WORD_1 src1_sel:DWORD
	v_add_co_ci_u32_e32 v3, vcc_lo, 0, v3, vcc_lo
	v_or_b32_e32 v10, v16, v10
	v_cndmask_b32_e64 v11, 0, 1, s1
	v_lshl_or_b32 v16, v12, 12, v1
	v_cmp_gt_i32_e64 s1, 1, v12
	v_fmac_f16_e32 v18, v84, v0
	v_cmp_ne_u32_e32 vcc_lo, 0, v22
	v_and_or_b32 v15, 0xffe, v15, v11
	v_sub_nc_u32_e32 v11, 0x3f1, v17
	v_cndmask_b32_e64 v16, v16, v10, s1
	v_cmp_gt_i32_e64 s1, 31, v19
	v_mul_f64 v[5:6], v[5:6], s[6:7]
	v_or_b32_e32 v20, 0x1000, v15
	v_med3_i32 v21, v11, 0, 13
	v_and_b32_e32 v10, 7, v16
	v_cvt_f32_f16_e32 v11, v18
	v_cndmask_b32_e64 v18, 0, 1, vcc_lo
	v_lshrrev_b32_e32 v16, 2, v16
	v_lshrrev_b32_e32 v22, v21, v20
	v_cmp_lt_i32_e32 vcc_lo, 5, v10
	v_cmp_eq_u32_e64 s0, 3, v10
	v_cvt_f64_f32_e32 v[10:11], v11
	v_cndmask_b32_e64 v3, 0x7c00, v3, s1
	v_lshl_or_b32 v18, v18, 9, 0x7c00
	v_lshlrev_b32_e32 v21, v21, v22
	s_or_b32 vcc_lo, s0, vcc_lo
	v_add_nc_u32_e32 v17, 0xfffffc10, v17
	v_add_co_ci_u32_e32 v16, vcc_lo, 0, v16, vcc_lo
	v_cmp_eq_u32_e32 vcc_lo, 0x40f, v19
	v_mul_f16_sdwa v0, v84, v0 dst_sel:DWORD dst_unused:UNUSED_PAD src0_sel:WORD_1 src1_sel:DWORD
	v_lshl_or_b32 v19, v17, 12, v15
	v_and_or_b32 v5, 0x1ff, v6, v5
	v_cndmask_b32_e32 v3, v3, v18, vcc_lo
	v_cmp_ne_u32_e32 vcc_lo, 0, v1
	v_fma_f16 v0, v84, v13, -v0
	v_and_or_b32 v3, 0x8000, v14, v3
	v_cndmask_b32_e64 v1, 0, 1, vcc_lo
	v_cmp_ne_u32_e32 vcc_lo, v21, v20
	v_cvt_f32_f16_e32 v0, v0
	v_mul_f64 v[10:11], v[10:11], s[6:7]
	v_and_b32_e32 v3, 0xffff, v3
	v_lshl_or_b32 v1, v1, 9, 0x7c00
	v_cndmask_b32_e64 v18, 0, 1, vcc_lo
	v_cmp_gt_i32_e32 vcc_lo, 31, v12
	v_or_b32_e32 v18, v22, v18
	v_cndmask_b32_e32 v16, 0x7c00, v16, vcc_lo
	v_cmp_gt_i32_e32 vcc_lo, 1, v17
	v_cndmask_b32_e32 v18, v19, v18, vcc_lo
	v_cmp_ne_u32_e32 vcc_lo, 0, v5
	v_lshrrev_b32_e32 v19, 8, v6
	v_cndmask_b32_e64 v5, 0, 1, vcc_lo
	v_cmp_eq_u32_e32 vcc_lo, 0x40f, v12
	v_bfe_u32 v12, v6, 20, 11
	v_and_or_b32 v10, 0x1ff, v11, v10
	v_bfe_u32 v20, v11, 20, 11
	v_and_or_b32 v5, 0xffe, v19, v5
	v_cndmask_b32_e32 v1, v16, v1, vcc_lo
	v_and_b32_e32 v16, 7, v18
	v_sub_nc_u32_e32 v19, 0x3f1, v12
	v_add_nc_u32_e32 v21, 0xfffffc10, v12
	v_or_b32_e32 v13, 0x1000, v5
	v_and_or_b32 v2, 0x8000, v2, v1
	v_cmp_lt_i32_e32 vcc_lo, 5, v16
	v_cmp_eq_u32_e64 s0, 3, v16
	v_lshrrev_b32_e32 v16, 2, v18
	v_med3_i32 v14, v19, 0, 13
	v_cvt_f64_f32_e32 v[0:1], v0
	v_lshrrev_b32_e32 v19, 8, v11
	s_or_b32 vcc_lo, s0, vcc_lo
	v_lshl_or_b32 v22, v21, 12, v5
	v_add_co_ci_u32_e32 v16, vcc_lo, 0, v16, vcc_lo
	v_lshrrev_b32_e32 v18, v14, v13
	v_cmp_ne_u32_e32 vcc_lo, 0, v10
	v_lshl_or_b32 v2, v2, 16, v3
	v_lshrrev_b32_e32 v6, 16, v6
	v_lshlrev_b32_e32 v14, v14, v18
	v_cndmask_b32_e64 v10, 0, 1, vcc_lo
	v_cmp_gt_i32_e32 vcc_lo, 31, v17
	v_and_or_b32 v10, 0xffe, v19, v10
	v_cndmask_b32_e32 v16, 0x7c00, v16, vcc_lo
	v_sub_nc_u32_e32 v19, 0x3f1, v20
	v_cmp_ne_u32_e32 vcc_lo, v14, v13
	v_or_b32_e32 v14, 0x1000, v10
	v_med3_i32 v19, v19, 0, 13
	v_cndmask_b32_e64 v13, 0, 1, vcc_lo
	v_cmp_ne_u32_e32 vcc_lo, 0, v15
	v_or_b32_e32 v18, v18, v13
	v_cndmask_b32_e64 v15, 0, 1, vcc_lo
	v_mul_f64 v[12:13], v[0:1], s[6:7]
	v_lshrrev_b32_e32 v0, v19, v14
	v_cmp_gt_i32_e32 vcc_lo, 1, v21
	v_lshl_or_b32 v15, v15, 9, 0x7c00
	v_lshlrev_b32_e32 v3, v19, v0
	v_cndmask_b32_e32 v1, v22, v18, vcc_lo
	v_cmp_eq_u32_e32 vcc_lo, 0x40f, v17
	v_mul_f16_sdwa v18, v83, v23 dst_sel:DWORD dst_unused:UNUSED_PAD src0_sel:WORD_1 src1_sel:DWORD
	v_lshrrev_b32_e32 v17, 16, v7
	v_cmp_ne_u32_e64 s0, v3, v14
	v_and_b32_e32 v19, 7, v1
	v_cndmask_b32_e32 v16, v16, v15, vcc_lo
	v_fmac_f16_e32 v18, v83, v4
	v_lshrrev_b32_e32 v1, 2, v1
	v_cndmask_b32_e64 v3, 0, 1, s0
	v_cmp_lt_i32_e32 vcc_lo, 5, v19
	v_cmp_eq_u32_e64 s0, 3, v19
	v_cvt_f32_f16_e32 v7, v18
	v_add_nc_u32_e32 v18, 0xfffffc10, v20
	v_or_b32_e32 v0, v0, v3
	v_and_or_b32 v3, 0x1ff, v13, v12
	s_or_b32 vcc_lo, s0, vcc_lo
	v_cvt_f64_f32_e32 v[14:15], v7
	v_add_co_ci_u32_e32 v1, vcc_lo, 0, v1, vcc_lo
	v_cmp_ne_u32_e32 vcc_lo, 0, v5
	v_lshl_or_b32 v7, v18, 12, v10
	v_bfe_u32 v20, v13, 20, 11
	v_mul_f16_sdwa v4, v83, v4 dst_sel:DWORD dst_unused:UNUSED_PAD src0_sel:WORD_1 src1_sel:DWORD
	v_cndmask_b32_e64 v5, 0, 1, vcc_lo
	v_cmp_gt_i32_e32 vcc_lo, 1, v18
	v_fma_f16 v4, v83, v23, -v4
	v_lshl_or_b32 v5, v5, 9, 0x7c00
	v_cndmask_b32_e32 v12, v7, v0, vcc_lo
	v_cmp_ne_u32_e32 vcc_lo, 0, v3
	v_lshrrev_b32_e32 v7, 8, v13
	v_cvt_f32_f16_e32 v4, v4
	v_lshrrev_b32_e32 v13, 16, v13
	v_cndmask_b32_e64 v3, 0, 1, vcc_lo
	v_cmp_gt_i32_e32 vcc_lo, 31, v21
	v_and_or_b32 v22, 0xffe, v7, v3
	v_cndmask_b32_e32 v19, 0x7c00, v1, vcc_lo
	v_add_co_u32 v0, vcc_lo, v8, s5
	v_add_co_ci_u32_e32 v1, vcc_lo, s2, v9, vcc_lo
	v_sub_nc_u32_e32 v3, 0x3f1, v20
	v_cmp_eq_u32_e32 vcc_lo, 0x40f, v21
	v_and_b32_e32 v9, 7, v12
	v_mul_f64 v[7:8], v[14:15], s[6:7]
	v_or_b32_e32 v14, 0x1000, v22
	v_med3_i32 v3, v3, 0, 13
	v_cndmask_b32_e32 v5, v19, v5, vcc_lo
	v_cmp_lt_i32_e32 vcc_lo, 5, v9
	v_cmp_eq_u32_e64 s0, 3, v9
	v_lshrrev_b32_e32 v9, 2, v12
	v_and_or_b32 v15, 0x8000, v17, v16
	v_and_or_b32 v5, 0x8000, v6, v5
	v_lshrrev_b32_e32 v6, v3, v14
	s_or_b32 vcc_lo, s0, vcc_lo
	v_add_co_ci_u32_e32 v9, vcc_lo, 0, v9, vcc_lo
	v_lshlrev_b32_e32 v3, v3, v6
	v_cmp_ne_u32_e32 vcc_lo, 0, v10
	v_and_b32_e32 v12, 0xffff, v15
	ds_read_b32 v15, v81 offset:12000
	v_cndmask_b32_e64 v10, 0, 1, vcc_lo
	v_cmp_ne_u32_e32 vcc_lo, v3, v14
	v_lshl_or_b32 v16, v5, 16, v12
	v_and_or_b32 v5, 0x1ff, v8, v7
	v_add_nc_u32_e32 v14, 0xfffffc10, v20
	v_lshrrev_b32_e32 v17, 8, v8
	v_cndmask_b32_e64 v7, 0, 1, vcc_lo
	v_cmp_gt_i32_e32 vcc_lo, 31, v18
	v_bfe_u32 v19, v8, 20, 11
	v_cvt_f64_f32_e32 v[3:4], v4
	v_lshrrev_b32_e32 v8, 16, v8
	v_or_b32_e32 v6, v6, v7
	v_cndmask_b32_e32 v9, 0x7c00, v9, vcc_lo
	v_cmp_ne_u32_e32 vcc_lo, 0, v5
	v_lshl_or_b32 v7, v14, 12, v22
	s_waitcnt lgkmcnt(0)
	v_lshrrev_b32_e32 v12, 16, v15
	v_cndmask_b32_e64 v5, 0, 1, vcc_lo
	v_cmp_gt_i32_e32 vcc_lo, 1, v14
	v_mul_f16_sdwa v20, v82, v12 dst_sel:DWORD dst_unused:UNUSED_PAD src0_sel:WORD_1 src1_sel:DWORD
	v_and_or_b32 v17, 0xffe, v17, v5
	v_sub_nc_u32_e32 v5, 0x3f1, v19
	v_cndmask_b32_e32 v7, v7, v6, vcc_lo
	v_lshl_or_b32 v6, v10, 9, 0x7c00
	v_cmp_eq_u32_e32 vcc_lo, 0x40f, v18
	v_or_b32_e32 v10, 0x1000, v17
	v_med3_i32 v21, v5, 0, 13
	v_and_b32_e32 v23, 7, v7
	v_fmac_f16_e32 v20, v82, v15
	v_cndmask_b32_e32 v18, v9, v6, vcc_lo
	v_lshrrev_b32_e32 v7, 2, v7
	v_lshrrev_b32_e32 v9, v21, v10
	v_cmp_lt_i32_e32 vcc_lo, 5, v23
	v_cmp_eq_u32_e64 s0, 3, v23
	v_cvt_f32_f16_e32 v5, v20
	v_lshrrev_b32_e32 v20, 16, v11
	v_lshlrev_b32_e32 v11, v21, v9
	v_mul_f16_sdwa v15, v82, v15 dst_sel:DWORD dst_unused:UNUSED_PAD src0_sel:WORD_1 src1_sel:DWORD
	s_or_b32 vcc_lo, s0, vcc_lo
	v_cvt_f64_f32_e32 v[5:6], v5
	v_add_co_ci_u32_e32 v7, vcc_lo, 0, v7, vcc_lo
	v_cmp_ne_u32_e32 vcc_lo, v11, v10
	v_mul_f64 v[3:4], v[3:4], s[6:7]
	v_fma_f16 v12, v82, v12, -v15
	v_add_nc_u32_e32 v15, 0xfffffc10, v19
	v_and_or_b32 v18, 0x8000, v20, v18
	v_cndmask_b32_e64 v10, 0, 1, vcc_lo
	v_cmp_ne_u32_e32 vcc_lo, 0, v22
	v_cvt_f32_f16_e32 v11, v12
	v_lshl_or_b32 v21, v15, 12, v17
	v_and_b32_e32 v18, 0xffff, v18
	v_or_b32_e32 v19, v9, v10
	v_cndmask_b32_e64 v12, 0, 1, vcc_lo
	v_cmp_gt_i32_e32 vcc_lo, 31, v14
	v_cvt_f64_f32_e32 v[9:10], v11
	v_lshl_or_b32 v22, v12, 9, 0x7c00
	v_cndmask_b32_e32 v7, 0x7c00, v7, vcc_lo
	v_add_co_u32 v11, vcc_lo, v0, s4
	v_add_co_ci_u32_e32 v12, vcc_lo, s3, v1, vcc_lo
	v_cmp_gt_i32_e32 vcc_lo, 1, v15
	v_mul_f64 v[5:6], v[5:6], s[6:7]
	v_and_or_b32 v3, 0x1ff, v4, v3
	v_cndmask_b32_e32 v19, v21, v19, vcc_lo
	v_cmp_eq_u32_e32 vcc_lo, 0x40f, v14
	v_lshrrev_b32_e32 v14, 8, v4
	v_bfe_u32 v21, v4, 20, 11
	v_lshrrev_b32_e32 v4, 16, v4
	v_cndmask_b32_e32 v7, v7, v22, vcc_lo
	v_cmp_ne_u32_e32 vcc_lo, 0, v3
	v_and_b32_e32 v22, 7, v19
	v_mul_f64 v[9:10], v[9:10], s[6:7]
	v_lshrrev_b32_e32 v19, 2, v19
	v_and_or_b32 v7, 0x8000, v13, v7
	v_cndmask_b32_e64 v3, 0, 1, vcc_lo
	v_cmp_lt_i32_e32 vcc_lo, 5, v22
	v_cmp_eq_u32_e64 s0, 3, v22
	v_and_or_b32 v3, 0xffe, v14, v3
	v_sub_nc_u32_e32 v14, 0x3f1, v21
	v_and_or_b32 v5, 0x1ff, v6, v5
	s_or_b32 vcc_lo, s0, vcc_lo
	v_lshrrev_b32_e32 v22, 8, v6
	v_or_b32_e32 v13, 0x1000, v3
	v_med3_i32 v14, v14, 0, 13
	v_add_co_ci_u32_e32 v19, vcc_lo, 0, v19, vcc_lo
	v_cmp_ne_u32_e32 vcc_lo, 0, v5
	v_bfe_u32 v23, v6, 20, 11
	v_lshrrev_b32_e32 v20, v14, v13
	v_lshrrev_b32_e32 v6, 16, v6
	v_cndmask_b32_e64 v5, 0, 1, vcc_lo
	v_cmp_ne_u32_e32 vcc_lo, 0, v17
	v_lshlrev_b32_e32 v14, v14, v20
	v_and_or_b32 v9, 0x1ff, v10, v9
	v_lshrrev_b32_e32 v24, 8, v10
	v_and_or_b32 v5, 0xffe, v22, v5
	v_cndmask_b32_e64 v17, 0, 1, vcc_lo
	v_cmp_ne_u32_e32 vcc_lo, v14, v13
	v_sub_nc_u32_e32 v22, 0x3f1, v23
	v_add_nc_u32_e32 v14, 0xfffffc10, v21
	v_or_b32_e32 v21, 0x1000, v5
	v_bfe_u32 v25, v10, 20, 11
	v_cndmask_b32_e64 v13, 0, 1, vcc_lo
	v_cmp_gt_i32_e32 vcc_lo, 31, v15
	v_med3_i32 v22, v22, 0, 13
	v_lshl_or_b32 v17, v17, 9, 0x7c00
	v_or_b32_e32 v13, v20, v13
	v_cndmask_b32_e32 v19, 0x7c00, v19, vcc_lo
	v_cmp_ne_u32_e32 vcc_lo, 0, v9
	v_lshl_or_b32 v20, v14, 12, v3
	v_lshrrev_b32_e32 v26, v22, v21
	v_cndmask_b32_e64 v9, 0, 1, vcc_lo
	v_cmp_gt_i32_e32 vcc_lo, 1, v14
	v_and_or_b32 v9, 0xffe, v24, v9
	v_sub_nc_u32_e32 v24, 0x3f1, v25
	v_cndmask_b32_e32 v13, v20, v13, vcc_lo
	v_lshlrev_b32_e32 v20, v22, v26
	v_cmp_eq_u32_e32 vcc_lo, 0x40f, v15
	v_or_b32_e32 v22, 0x1000, v9
	v_med3_i32 v24, v24, 0, 13
	v_and_b32_e32 v27, 7, v13
	v_lshrrev_b32_e32 v13, 2, v13
	v_cndmask_b32_e32 v15, v19, v17, vcc_lo
	v_cmp_ne_u32_e32 vcc_lo, v20, v21
	v_add_nc_u32_e32 v19, 0xfffffc10, v23
	v_lshrrev_b32_e32 v20, v24, v22
	v_cmp_eq_u32_e64 s0, 3, v27
	v_and_or_b32 v8, 0x8000, v8, v15
	v_cndmask_b32_e64 v17, 0, 1, vcc_lo
	v_lshl_or_b32 v21, v19, 12, v5
	v_lshlrev_b32_e32 v23, v24, v20
	v_cmp_gt_i32_e64 s1, 1, v19
	v_cmp_lt_i32_e32 vcc_lo, 5, v27
	v_or_b32_e32 v17, v26, v17
	v_and_b32_e32 v8, 0xffff, v8
	s_or_b32 vcc_lo, s0, vcc_lo
	v_cndmask_b32_e64 v17, v21, v17, s1
	v_cmp_ne_u32_e64 s1, v23, v22
	v_add_nc_u32_e32 v22, 0xfffffc10, v25
	v_add_co_ci_u32_e32 v13, vcc_lo, 0, v13, vcc_lo
	v_and_b32_e32 v23, 7, v17
	v_cndmask_b32_e64 v21, 0, 1, s1
	v_cmp_ne_u32_e32 vcc_lo, 0, v3
	v_cmp_gt_i32_e64 s0, 1, v22
	v_lshrrev_b32_e32 v17, 2, v17
	v_cmp_gt_i32_e64 s1, 31, v14
	v_or_b32_e32 v20, v20, v21
	v_lshl_or_b32 v21, v22, 12, v9
	v_cndmask_b32_e64 v3, 0, 1, vcc_lo
	v_cmp_lt_i32_e32 vcc_lo, 5, v23
	v_cndmask_b32_e64 v13, 0x7c00, v13, s1
	v_cmp_eq_u32_e64 s1, 0x40f, v14
	v_cndmask_b32_e64 v15, v21, v20, s0
	v_cmp_eq_u32_e64 s0, 3, v23
	v_lshl_or_b32 v3, v3, 9, 0x7c00
	v_and_b32_e32 v20, 7, v15
	s_or_b32 vcc_lo, s0, vcc_lo
	v_cndmask_b32_e64 v3, v13, v3, s1
	v_add_co_ci_u32_e32 v17, vcc_lo, 0, v17, vcc_lo
	v_cmp_ne_u32_e32 vcc_lo, 0, v5
	v_cmp_eq_u32_e64 s0, 3, v20
	v_lshrrev_b32_e32 v13, 2, v15
	v_cmp_gt_i32_e64 s1, 31, v19
	v_cndmask_b32_e64 v5, 0, 1, vcc_lo
	v_cmp_lt_i32_e32 vcc_lo, 5, v20
	v_cndmask_b32_e64 v14, 0x7c00, v17, s1
	v_lshl_or_b32 v5, v5, 9, 0x7c00
	s_or_b32 vcc_lo, s0, vcc_lo
	v_add_co_ci_u32_e32 v13, vcc_lo, 0, v13, vcc_lo
	v_cmp_ne_u32_e32 vcc_lo, 0, v9
	v_cndmask_b32_e64 v9, 0, 1, vcc_lo
	v_cmp_eq_u32_e32 vcc_lo, 0x40f, v19
	v_lshl_or_b32 v9, v9, 9, 0x7c00
	v_cndmask_b32_e32 v5, v14, v5, vcc_lo
	v_cmp_gt_i32_e32 vcc_lo, 31, v22
	v_lshl_or_b32 v14, v7, 16, v18
	v_and_or_b32 v7, 0x8000, v4, v3
	v_and_or_b32 v5, 0x8000, v6, v5
	v_cndmask_b32_e32 v13, 0x7c00, v13, vcc_lo
	v_cmp_eq_u32_e32 vcc_lo, 0x40f, v22
	v_cndmask_b32_e32 v6, v13, v9, vcc_lo
	v_lshrrev_b32_e32 v9, 16, v10
	v_add_co_u32 v3, vcc_lo, v11, s4
	v_add_co_ci_u32_e32 v4, vcc_lo, s3, v12, vcc_lo
	v_lshl_or_b32 v10, v7, 16, v8
	v_and_or_b32 v7, 0x8000, v9, v6
	v_and_b32_e32 v8, 0xffff, v5
	v_add_co_u32 v5, vcc_lo, v3, s4
	v_add_co_ci_u32_e32 v6, vcc_lo, s3, v4, vcc_lo
	v_lshl_or_b32 v9, v7, 16, v8
	v_add_co_u32 v7, vcc_lo, v5, s4
	v_add_co_ci_u32_e32 v8, vcc_lo, s3, v6, vcc_lo
	global_store_dword v[0:1], v2, off
	global_store_dword v[11:12], v16, off
	global_store_dword v[3:4], v14, off
	global_store_dword v[5:6], v10, off
	global_store_dword v[7:8], v9, off
.LBB0_2:
	s_endpgm
	.section	.rodata,"a",@progbits
	.p2align	6, 0x0
	.amdhsa_kernel bluestein_single_back_len3125_dim1_half_op_CI_CI
		.amdhsa_group_segment_fixed_size 12500
		.amdhsa_private_segment_fixed_size 0
		.amdhsa_kernarg_size 104
		.amdhsa_user_sgpr_count 6
		.amdhsa_user_sgpr_private_segment_buffer 1
		.amdhsa_user_sgpr_dispatch_ptr 0
		.amdhsa_user_sgpr_queue_ptr 0
		.amdhsa_user_sgpr_kernarg_segment_ptr 1
		.amdhsa_user_sgpr_dispatch_id 0
		.amdhsa_user_sgpr_flat_scratch_init 0
		.amdhsa_user_sgpr_private_segment_size 0
		.amdhsa_wavefront_size32 1
		.amdhsa_uses_dynamic_stack 0
		.amdhsa_system_sgpr_private_segment_wavefront_offset 0
		.amdhsa_system_sgpr_workgroup_id_x 1
		.amdhsa_system_sgpr_workgroup_id_y 0
		.amdhsa_system_sgpr_workgroup_id_z 0
		.amdhsa_system_sgpr_workgroup_info 0
		.amdhsa_system_vgpr_workitem_id 0
		.amdhsa_next_free_vgpr 187
		.amdhsa_next_free_sgpr 20
		.amdhsa_reserve_vcc 1
		.amdhsa_reserve_flat_scratch 0
		.amdhsa_float_round_mode_32 0
		.amdhsa_float_round_mode_16_64 0
		.amdhsa_float_denorm_mode_32 3
		.amdhsa_float_denorm_mode_16_64 3
		.amdhsa_dx10_clamp 1
		.amdhsa_ieee_mode 1
		.amdhsa_fp16_overflow 0
		.amdhsa_workgroup_processor_mode 1
		.amdhsa_memory_ordered 1
		.amdhsa_forward_progress 0
		.amdhsa_shared_vgpr_count 0
		.amdhsa_exception_fp_ieee_invalid_op 0
		.amdhsa_exception_fp_denorm_src 0
		.amdhsa_exception_fp_ieee_div_zero 0
		.amdhsa_exception_fp_ieee_overflow 0
		.amdhsa_exception_fp_ieee_underflow 0
		.amdhsa_exception_fp_ieee_inexact 0
		.amdhsa_exception_int_div_zero 0
	.end_amdhsa_kernel
	.text
.Lfunc_end0:
	.size	bluestein_single_back_len3125_dim1_half_op_CI_CI, .Lfunc_end0-bluestein_single_back_len3125_dim1_half_op_CI_CI
                                        ; -- End function
	.section	.AMDGPU.csdata,"",@progbits
; Kernel info:
; codeLenInByte = 46100
; NumSgprs: 22
; NumVgprs: 187
; ScratchSize: 0
; MemoryBound: 0
; FloatMode: 240
; IeeeMode: 1
; LDSByteSize: 12500 bytes/workgroup (compile time only)
; SGPRBlocks: 2
; VGPRBlocks: 23
; NumSGPRsForWavesPerEU: 22
; NumVGPRsForWavesPerEU: 187
; Occupancy: 5
; WaveLimiterHint : 1
; COMPUTE_PGM_RSRC2:SCRATCH_EN: 0
; COMPUTE_PGM_RSRC2:USER_SGPR: 6
; COMPUTE_PGM_RSRC2:TRAP_HANDLER: 0
; COMPUTE_PGM_RSRC2:TGID_X_EN: 1
; COMPUTE_PGM_RSRC2:TGID_Y_EN: 0
; COMPUTE_PGM_RSRC2:TGID_Z_EN: 0
; COMPUTE_PGM_RSRC2:TIDIG_COMP_CNT: 0
	.text
	.p2alignl 6, 3214868480
	.fill 48, 4, 3214868480
	.type	__hip_cuid_9cf596547fd08ab2,@object ; @__hip_cuid_9cf596547fd08ab2
	.section	.bss,"aw",@nobits
	.globl	__hip_cuid_9cf596547fd08ab2
__hip_cuid_9cf596547fd08ab2:
	.byte	0                               ; 0x0
	.size	__hip_cuid_9cf596547fd08ab2, 1

	.ident	"AMD clang version 19.0.0git (https://github.com/RadeonOpenCompute/llvm-project roc-6.4.0 25133 c7fe45cf4b819c5991fe208aaa96edf142730f1d)"
	.section	".note.GNU-stack","",@progbits
	.addrsig
	.addrsig_sym __hip_cuid_9cf596547fd08ab2
	.amdgpu_metadata
---
amdhsa.kernels:
  - .args:
      - .actual_access:  read_only
        .address_space:  global
        .offset:         0
        .size:           8
        .value_kind:     global_buffer
      - .actual_access:  read_only
        .address_space:  global
        .offset:         8
        .size:           8
        .value_kind:     global_buffer
      - .actual_access:  read_only
        .address_space:  global
        .offset:         16
        .size:           8
        .value_kind:     global_buffer
      - .actual_access:  read_only
        .address_space:  global
        .offset:         24
        .size:           8
        .value_kind:     global_buffer
      - .actual_access:  read_only
        .address_space:  global
        .offset:         32
        .size:           8
        .value_kind:     global_buffer
      - .offset:         40
        .size:           8
        .value_kind:     by_value
      - .address_space:  global
        .offset:         48
        .size:           8
        .value_kind:     global_buffer
      - .address_space:  global
        .offset:         56
        .size:           8
        .value_kind:     global_buffer
      - .address_space:  global
        .offset:         64
        .size:           8
        .value_kind:     global_buffer
      - .address_space:  global
        .offset:         72
        .size:           8
        .value_kind:     global_buffer
      - .offset:         80
        .size:           4
        .value_kind:     by_value
      - .address_space:  global
        .offset:         88
        .size:           8
        .value_kind:     global_buffer
      - .address_space:  global
        .offset:         96
        .size:           8
        .value_kind:     global_buffer
    .group_segment_fixed_size: 12500
    .kernarg_segment_align: 8
    .kernarg_segment_size: 104
    .language:       OpenCL C
    .language_version:
      - 2
      - 0
    .max_flat_workgroup_size: 125
    .name:           bluestein_single_back_len3125_dim1_half_op_CI_CI
    .private_segment_fixed_size: 0
    .sgpr_count:     22
    .sgpr_spill_count: 0
    .symbol:         bluestein_single_back_len3125_dim1_half_op_CI_CI.kd
    .uniform_work_group_size: 1
    .uses_dynamic_stack: false
    .vgpr_count:     187
    .vgpr_spill_count: 0
    .wavefront_size: 32
    .workgroup_processor_mode: 1
amdhsa.target:   amdgcn-amd-amdhsa--gfx1030
amdhsa.version:
  - 1
  - 2
...

	.end_amdgpu_metadata
